;; amdgpu-corpus repo=ROCm/rocFFT kind=compiled arch=gfx906 opt=O3
	.text
	.amdgcn_target "amdgcn-amd-amdhsa--gfx906"
	.amdhsa_code_object_version 6
	.protected	bluestein_single_fwd_len1989_dim1_half_op_CI_CI ; -- Begin function bluestein_single_fwd_len1989_dim1_half_op_CI_CI
	.globl	bluestein_single_fwd_len1989_dim1_half_op_CI_CI
	.p2align	8
	.type	bluestein_single_fwd_len1989_dim1_half_op_CI_CI,@function
bluestein_single_fwd_len1989_dim1_half_op_CI_CI: ; @bluestein_single_fwd_len1989_dim1_half_op_CI_CI
; %bb.0:
	s_mov_b64 s[50:51], s[2:3]
	s_mov_b64 s[48:49], s[0:1]
	s_load_dwordx4 s[0:3], s[4:5], 0x28
	v_mul_u32_u24_e32 v1, 0x1ad, v0
	v_add_u32_sdwa v176, s6, v1 dst_sel:DWORD dst_unused:UNUSED_PAD src0_sel:DWORD src1_sel:WORD_1
	v_mov_b32_e32 v177, 0
	s_add_u32 s48, s48, s7
	s_waitcnt lgkmcnt(0)
	v_cmp_gt_u64_e32 vcc, s[0:1], v[176:177]
	s_addc_u32 s49, s49, 0
	s_and_saveexec_b64 s[0:1], vcc
	s_cbranch_execz .LBB0_23
; %bb.1:
	s_load_dwordx2 s[6:7], s[4:5], 0x0
	s_load_dwordx2 s[12:13], s[4:5], 0x38
	s_movk_i32 s0, 0x99
	v_mul_lo_u16_sdwa v1, v1, s0 dst_sel:DWORD dst_unused:UNUSED_PAD src0_sel:WORD_1 src1_sel:DWORD
	v_sub_u16_e32 v192, v0, v1
	s_movk_i32 s0, 0x75
	v_cmp_gt_u16_e64 s[0:1], s0, v192
	v_lshlrev_b32_e32 v49, 2, v192
	s_and_saveexec_b64 s[8:9], s[0:1]
	s_cbranch_execz .LBB0_3
; %bb.2:
	s_load_dwordx2 s[10:11], s[4:5], 0x18
	s_waitcnt lgkmcnt(0)
	v_mov_b32_e32 v12, s7
	v_add_u32_e32 v13, 0x200, v49
	s_load_dwordx4 s[16:19], s[10:11], 0x0
	s_waitcnt lgkmcnt(0)
	v_mad_u64_u32 v[0:1], s[10:11], s18, v176, 0
	v_mad_u64_u32 v[2:3], s[10:11], s16, v192, 0
	;; [unrolled: 1-line block ×4, first 2 shown]
	v_mov_b32_e32 v1, v4
	v_lshlrev_b64 v[0:1], 2, v[0:1]
	v_mov_b32_e32 v3, v5
	v_mov_b32_e32 v6, s3
	v_lshlrev_b64 v[2:3], 2, v[2:3]
	v_add_co_u32_e32 v0, vcc, s2, v0
	v_addc_co_u32_e32 v1, vcc, v6, v1, vcc
	v_add_co_u32_e32 v0, vcc, v0, v2
	s_mul_i32 s2, s17, 0x1d4
	s_mul_hi_u32 s3, s16, 0x1d4
	v_addc_co_u32_e32 v1, vcc, v1, v3, vcc
	s_add_i32 s2, s3, s2
	s_mul_i32 s3, s16, 0x1d4
	v_mov_b32_e32 v3, s2
	v_add_co_u32_e32 v2, vcc, s3, v0
	v_addc_co_u32_e32 v3, vcc, v1, v3, vcc
	global_load_dword v4, v[0:1], off
	global_load_dword v5, v[2:3], off
	global_load_dword v6, v49, s[6:7]
	global_load_dword v7, v49, s[6:7] offset:468
	v_mov_b32_e32 v1, s2
	v_add_co_u32_e32 v0, vcc, s3, v2
	v_addc_co_u32_e32 v1, vcc, v3, v1, vcc
	global_load_dword v2, v[0:1], off
	global_load_dword v3, v49, s[6:7] offset:936
	v_mov_b32_e32 v8, s2
	v_add_co_u32_e32 v0, vcc, s3, v0
	v_addc_co_u32_e32 v1, vcc, v1, v8, vcc
	global_load_dword v8, v[0:1], off
	;; [unrolled: 5-line block ×3, first 2 shown]
	global_load_dword v11, v49, s[6:7] offset:1872
	v_add_co_u32_e32 v17, vcc, s6, v49
	v_addc_co_u32_e32 v12, vcc, 0, v12, vcc
	v_mov_b32_e32 v18, s2
	v_add_co_u32_e32 v0, vcc, s3, v0
	v_addc_co_u32_e32 v1, vcc, v1, v18, vcc
	global_load_dword v14, v49, s[6:7] offset:2340
	global_load_dword v15, v49, s[6:7] offset:2808
	;; [unrolled: 1-line block ×3, first 2 shown]
	global_load_dword v18, v[0:1], off
	v_mov_b32_e32 v19, s2
	v_add_co_u32_e32 v0, vcc, s3, v0
	v_addc_co_u32_e32 v1, vcc, v1, v19, vcc
	global_load_dword v19, v[0:1], off
	v_mov_b32_e32 v20, s2
	v_add_co_u32_e32 v0, vcc, s3, v0
	v_addc_co_u32_e32 v1, vcc, v1, v20, vcc
	s_movk_i32 s10, 0x1000
	v_mov_b32_e32 v26, s2
	s_waitcnt vmcnt(14)
	v_lshrrev_b32_e32 v21, 16, v4
	s_waitcnt vmcnt(12)
	v_mul_f16_sdwa v22, v6, v4 dst_sel:DWORD dst_unused:UNUSED_PAD src0_sel:WORD_1 src1_sel:DWORD
	v_mul_f16_sdwa v23, v6, v21 dst_sel:DWORD dst_unused:UNUSED_PAD src0_sel:WORD_1 src1_sel:DWORD
	v_fma_f16 v21, v6, v21, -v22
	v_lshrrev_b32_e32 v22, 16, v5
	s_waitcnt vmcnt(11)
	v_mul_f16_sdwa v24, v7, v5 dst_sel:DWORD dst_unused:UNUSED_PAD src0_sel:WORD_1 src1_sel:DWORD
	v_fma_f16 v4, v6, v4, v23
	v_mul_f16_sdwa v6, v7, v22 dst_sel:DWORD dst_unused:UNUSED_PAD src0_sel:WORD_1 src1_sel:DWORD
	s_waitcnt vmcnt(10)
	v_lshrrev_b32_e32 v23, 16, v2
	v_fma_f16 v22, v7, v22, -v24
	s_waitcnt vmcnt(9)
	v_mul_f16_sdwa v24, v3, v2 dst_sel:DWORD dst_unused:UNUSED_PAD src0_sel:WORD_1 src1_sel:DWORD
	v_pack_b32_f16 v4, v4, v21
	v_fma_f16 v5, v7, v5, v6
	v_mul_f16_sdwa v6, v3, v23 dst_sel:DWORD dst_unused:UNUSED_PAD src0_sel:WORD_1 src1_sel:DWORD
	s_waitcnt vmcnt(8)
	v_lshrrev_b32_e32 v21, 16, v8
	v_fma_f16 v7, v3, v23, -v24
	s_waitcnt vmcnt(7)
	v_mul_f16_sdwa v23, v9, v8 dst_sel:DWORD dst_unused:UNUSED_PAD src0_sel:WORD_1 src1_sel:DWORD
	v_fma_f16 v2, v3, v2, v6
	v_mul_f16_sdwa v3, v9, v21 dst_sel:DWORD dst_unused:UNUSED_PAD src0_sel:WORD_1 src1_sel:DWORD
	v_fma_f16 v6, v9, v21, -v23
	v_fma_f16 v3, v9, v8, v3
	v_pack_b32_f16 v3, v3, v6
	global_load_dword v6, v[0:1], off
	v_pack_b32_f16 v5, v5, v22
	v_pack_b32_f16 v2, v2, v7
	ds_write2_b32 v49, v4, v5 offset1:117
	ds_write2_b32 v13, v2, v3 offset0:106 offset1:223
	v_mov_b32_e32 v2, s2
	v_add_co_u32_e32 v0, vcc, s3, v0
	v_addc_co_u32_e32 v1, vcc, v1, v2, vcc
	global_load_dword v7, v[0:1], off
	global_load_dword v8, v49, s[6:7] offset:3744
	v_add_co_u32_e32 v0, vcc, s3, v0
	v_addc_co_u32_e32 v1, vcc, v1, v2, vcc
	s_waitcnt vmcnt(9)
	v_lshrrev_b32_e32 v21, 16, v10
	v_add_co_u32_e32 v2, vcc, s10, v17
	s_waitcnt vmcnt(8)
	v_mul_f16_sdwa v4, v11, v21 dst_sel:DWORD dst_unused:UNUSED_PAD src0_sel:WORD_1 src1_sel:DWORD
	global_load_dword v9, v[0:1], off
	v_addc_co_u32_e32 v3, vcc, 0, v12, vcc
	v_mul_f16_sdwa v22, v11, v10 dst_sel:DWORD dst_unused:UNUSED_PAD src0_sel:WORD_1 src1_sel:DWORD
	v_fma_f16 v4, v11, v10, v4
	global_load_dword v10, v[2:3], off offset:116
	v_fma_f16 v5, v11, v21, -v22
	v_mov_b32_e32 v11, s2
	v_add_co_u32_e32 v0, vcc, s3, v0
	v_addc_co_u32_e32 v1, vcc, v1, v11, vcc
	global_load_dword v11, v[0:1], off
	global_load_dword v12, v[2:3], off offset:584
	v_mov_b32_e32 v13, s2
	v_add_co_u32_e32 v0, vcc, s3, v0
	v_addc_co_u32_e32 v1, vcc, v1, v13, vcc
	global_load_dword v13, v[0:1], off
	global_load_dword v17, v[2:3], off offset:1052
	v_add_co_u32_e32 v0, vcc, s3, v0
	v_addc_co_u32_e32 v1, vcc, v1, v20, vcc
	global_load_dword v20, v[0:1], off
	global_load_dword v21, v[2:3], off offset:1520
	v_mov_b32_e32 v22, s2
	v_add_co_u32_e32 v0, vcc, s3, v0
	v_addc_co_u32_e32 v1, vcc, v1, v22, vcc
	global_load_dword v22, v[0:1], off
	global_load_dword v23, v[2:3], off offset:1988
	v_mov_b32_e32 v24, s2
	v_add_co_u32_e32 v0, vcc, s3, v0
	v_addc_co_u32_e32 v1, vcc, v1, v24, vcc
	global_load_dword v24, v[0:1], off
	global_load_dword v25, v[2:3], off offset:2456
	v_add_co_u32_e32 v0, vcc, s3, v0
	v_addc_co_u32_e32 v1, vcc, v1, v26, vcc
	global_load_dword v26, v[0:1], off
	global_load_dword v27, v[2:3], off offset:2924
	v_pack_b32_f16 v4, v4, v5
	v_mov_b32_e32 v5, s2
	v_add_co_u32_e32 v0, vcc, s3, v0
	v_addc_co_u32_e32 v1, vcc, v1, v5, vcc
	global_load_dword v5, v[0:1], off
	global_load_dword v29, v[2:3], off offset:3392
	s_waitcnt vmcnt(20)
	v_lshrrev_b32_e32 v0, 16, v18
	v_mul_f16_sdwa v1, v14, v0 dst_sel:DWORD dst_unused:UNUSED_PAD src0_sel:WORD_1 src1_sel:DWORD
	v_mul_f16_sdwa v2, v14, v18 dst_sel:DWORD dst_unused:UNUSED_PAD src0_sel:WORD_1 src1_sel:DWORD
	v_fma_f16 v1, v14, v18, v1
	v_fma_f16 v0, v14, v0, -v2
	v_pack_b32_f16 v0, v1, v0
	v_add_u32_e32 v1, 0x600, v49
	ds_write2_b32 v1, v4, v0 offset0:84 offset1:201
	s_waitcnt vmcnt(19)
	v_lshrrev_b32_e32 v0, 16, v19
	v_mul_f16_sdwa v1, v15, v0 dst_sel:DWORD dst_unused:UNUSED_PAD src0_sel:WORD_1 src1_sel:DWORD
	v_mul_f16_sdwa v2, v15, v19 dst_sel:DWORD dst_unused:UNUSED_PAD src0_sel:WORD_1 src1_sel:DWORD
	v_fma_f16 v1, v15, v19, v1
	v_fma_f16 v0, v15, v0, -v2
	v_pack_b32_f16 v0, v1, v0
	s_waitcnt vmcnt(18)
	v_lshrrev_b32_e32 v1, 16, v6
	v_mul_f16_sdwa v2, v16, v1 dst_sel:DWORD dst_unused:UNUSED_PAD src0_sel:WORD_1 src1_sel:DWORD
	v_mul_f16_sdwa v3, v16, v6 dst_sel:DWORD dst_unused:UNUSED_PAD src0_sel:WORD_1 src1_sel:DWORD
	v_fma_f16 v2, v16, v6, v2
	v_fma_f16 v1, v16, v1, -v3
	v_pack_b32_f16 v1, v2, v1
	v_add_u32_e32 v2, 0xa00, v49
	ds_write2_b32 v2, v0, v1 offset0:62 offset1:179
	s_waitcnt vmcnt(17)
	v_lshrrev_b32_e32 v0, 16, v7
	s_waitcnt vmcnt(16)
	v_mul_f16_sdwa v1, v8, v0 dst_sel:DWORD dst_unused:UNUSED_PAD src0_sel:WORD_1 src1_sel:DWORD
	v_mul_f16_sdwa v2, v8, v7 dst_sel:DWORD dst_unused:UNUSED_PAD src0_sel:WORD_1 src1_sel:DWORD
	v_fma_f16 v1, v8, v7, v1
	v_fma_f16 v0, v8, v0, -v2
	v_pack_b32_f16 v0, v1, v0
	s_waitcnt vmcnt(15)
	v_lshrrev_b32_e32 v1, 16, v9
	s_waitcnt vmcnt(14)
	v_mul_f16_sdwa v2, v10, v1 dst_sel:DWORD dst_unused:UNUSED_PAD src0_sel:WORD_1 src1_sel:DWORD
	v_mul_f16_sdwa v3, v10, v9 dst_sel:DWORD dst_unused:UNUSED_PAD src0_sel:WORD_1 src1_sel:DWORD
	v_fma_f16 v2, v10, v9, v2
	v_fma_f16 v1, v10, v1, -v3
	v_pack_b32_f16 v1, v2, v1
	v_add_u32_e32 v2, 0xe00, v49
	ds_write2_b32 v2, v0, v1 offset0:40 offset1:157
	s_waitcnt vmcnt(13)
	v_lshrrev_b32_e32 v0, 16, v11
	s_waitcnt vmcnt(12)
	v_mul_f16_sdwa v1, v12, v0 dst_sel:DWORD dst_unused:UNUSED_PAD src0_sel:WORD_1 src1_sel:DWORD
	v_mul_f16_sdwa v2, v12, v11 dst_sel:DWORD dst_unused:UNUSED_PAD src0_sel:WORD_1 src1_sel:DWORD
	v_fma_f16 v1, v12, v11, v1
	v_fma_f16 v0, v12, v0, -v2
	v_pack_b32_f16 v0, v1, v0
	s_waitcnt vmcnt(11)
	v_lshrrev_b32_e32 v1, 16, v13
	s_waitcnt vmcnt(10)
	;; [unrolled: 18-line block ×4, first 2 shown]
	v_mul_f16_sdwa v2, v27, v1 dst_sel:DWORD dst_unused:UNUSED_PAD src0_sel:WORD_1 src1_sel:DWORD
	v_mul_f16_sdwa v3, v27, v26 dst_sel:DWORD dst_unused:UNUSED_PAD src0_sel:WORD_1 src1_sel:DWORD
	v_fma_f16 v2, v27, v26, v2
	v_fma_f16 v1, v27, v1, -v3
	v_pack_b32_f16 v1, v2, v1
	v_add_u32_e32 v2, 0x1800, v49
	ds_write2_b32 v2, v0, v1 offset0:102 offset1:219
	s_waitcnt vmcnt(1)
	v_lshrrev_b32_e32 v0, 16, v5
	s_waitcnt vmcnt(0)
	v_mul_f16_sdwa v1, v29, v0 dst_sel:DWORD dst_unused:UNUSED_PAD src0_sel:WORD_1 src1_sel:DWORD
	v_mul_f16_sdwa v2, v29, v5 dst_sel:DWORD dst_unused:UNUSED_PAD src0_sel:WORD_1 src1_sel:DWORD
	v_fma_f16 v1, v29, v5, v1
	v_fma_f16 v0, v29, v0, -v2
	v_pack_b32_f16 v0, v1, v0
	ds_write_b32 v49, v0 offset:7488
.LBB0_3:
	s_or_b64 exec, exec, s[8:9]
	s_load_dwordx2 s[2:3], s[4:5], 0x20
	s_load_dwordx2 s[14:15], s[4:5], 0x8
	v_mov_b32_e32 v0, 0
	s_waitcnt lgkmcnt(0)
	s_barrier
	s_waitcnt lgkmcnt(0)
                                        ; implicit-def: $vgpr16
                                        ; implicit-def: $vgpr11
                                        ; implicit-def: $vgpr9
                                        ; implicit-def: $vgpr7
                                        ; implicit-def: $vgpr5
                                        ; implicit-def: $vgpr3
                                        ; implicit-def: $vgpr13
                                        ; implicit-def: $vgpr15
                                        ; implicit-def: $vgpr25
	s_and_saveexec_b64 s[4:5], s[0:1]
	s_cbranch_execz .LBB0_5
; %bb.4:
	v_add_u32_e32 v2, 0x200, v49
	ds_read2_b32 v[14:15], v2 offset0:106 offset1:223
	v_add_u32_e32 v2, 0x600, v49
	ds_read2_b32 v[12:13], v2 offset0:84 offset1:201
	v_add_u32_e32 v2, 0xa00, v49
	v_add_u32_e32 v4, 0xe00, v49
	;; [unrolled: 1-line block ×5, first 2 shown]
	ds_read2_b32 v[0:1], v49 offset1:117
	ds_read2_b32 v[2:3], v2 offset0:62 offset1:179
	ds_read2_b32 v[4:5], v4 offset0:40 offset1:157
	;; [unrolled: 1-line block ×5, first 2 shown]
	ds_read_b32 v16, v49 offset:7488
	s_waitcnt lgkmcnt(8)
	v_alignbit_b32 v25, v14, v14, 16
.LBB0_5:
	s_or_b64 exec, exec, s[4:5]
	s_waitcnt lgkmcnt(0)
	v_pk_add_f16 v14, v1, v16 neg_lo:[0,1] neg_hi:[0,1]
	s_mov_b32 s26, 0xbb29
	v_pk_add_f16 v17, v16, v1
	s_movk_i32 s8, 0x3722
	v_mul_f16_sdwa v27, v14, s26 dst_sel:DWORD dst_unused:UNUSED_PAD src0_sel:WORD_1 src1_sel:DWORD
	s_mov_b32 s27, 0xbbf7
	v_fma_f16 v18, v17, s8, v27
	s_movk_i32 s9, 0x2de8
	v_mul_f16_sdwa v43, v14, s27 dst_sel:DWORD dst_unused:UNUSED_PAD src0_sel:WORD_1 src1_sel:DWORD
	v_add_f16_e32 v20, v18, v0
	v_fma_f16 v18, v17, s9, v43
	v_add_f16_e32 v21, v18, v0
	v_pk_add_f16 v18, v11, v25 op_sel:[1,0] op_sel_hi:[0,1]
	v_pk_add_f16 v19, v25, v11 op_sel:[1,0] op_sel_hi:[0,1] neg_lo:[0,1] neg_hi:[0,1]
	s_mov_b32 s10, 0xba62
	v_lshrrev_b32_e32 v40, 16, v18
	s_mov_b32 s16, 0xb8d2
	v_mul_f16_sdwa v36, v19, s10 dst_sel:DWORD dst_unused:UNUSED_PAD src0_sel:WORD_1 src1_sel:DWORD
	s_mov_b32 s11, 0xb1e1
	v_fma_f16 v22, v40, s16, v36
	s_mov_b32 s17, 0xbbdd
	v_mul_f16_sdwa v53, v19, s11 dst_sel:DWORD dst_unused:UNUSED_PAD src0_sel:WORD_1 src1_sel:DWORD
	v_add_f16_e32 v22, v22, v20
	v_fma_f16 v20, v40, s17, v53
	v_add_f16_e32 v23, v20, v21
	v_pk_add_f16 v20, v15, v10 neg_lo:[0,1] neg_hi:[0,1]
	s_movk_i32 s31, 0x31e1
	v_pk_add_f16 v21, v10, v15
	v_mul_f16_sdwa v38, v20, s31 dst_sel:DWORD dst_unused:UNUSED_PAD src0_sel:WORD_1 src1_sel:DWORD
	s_movk_i32 s29, 0x3bb2
	v_fma_f16 v24, v21, s17, v38
	s_mov_b32 s18, 0xb461
	v_mul_f16_sdwa v54, v20, s29 dst_sel:DWORD dst_unused:UNUSED_PAD src0_sel:WORD_1 src1_sel:DWORD
	v_add_f16_e32 v24, v24, v22
	v_fma_f16 v22, v21, s18, v54
	v_add_f16_e32 v26, v22, v23
	v_pk_add_f16 v22, v12, v9 neg_lo:[0,1] neg_hi:[0,1]
	v_pk_add_f16 v23, v9, v12
	v_mul_f16_sdwa v42, v22, s29 dst_sel:DWORD dst_unused:UNUSED_PAD src0_sel:WORD_1 src1_sel:DWORD
	s_movk_i32 s22, 0x35c8
	v_fma_f16 v29, v23, s18, v42
	s_movk_i32 s19, 0x3b76
	v_mul_f16_sdwa v56, v22, s22 dst_sel:DWORD dst_unused:UNUSED_PAD src0_sel:WORD_1 src1_sel:DWORD
	v_add_f16_e32 v29, v29, v24
	v_fma_f16 v24, v23, s19, v56
	v_add_f16_e32 v26, v24, v26
	s_movk_i32 s20, 0x3964
	v_pk_add_f16 v24, v13, v8 neg_lo:[0,1] neg_hi:[0,1]
	s_movk_i32 s21, 0x39e9
	v_pk_add_f16 v33, v8, v13
	v_mul_f16_sdwa v44, v24, s20 dst_sel:DWORD dst_unused:UNUSED_PAD src0_sel:WORD_1 src1_sel:DWORD
	v_fma_f16 v30, v33, s21, v44
	v_mul_f16_sdwa v61, v24, s26 dst_sel:DWORD dst_unused:UNUSED_PAD src0_sel:WORD_1 src1_sel:DWORD
	v_add_f16_e32 v29, v30, v29
	v_fma_f16 v30, v33, s8, v61
	v_add_f16_e32 v30, v30, v26
	s_mov_b32 s30, 0xb5c8
	v_pk_add_f16 v26, v2, v7 neg_lo:[0,1] neg_hi:[0,1]
	v_pk_add_f16 v34, v7, v2
	v_mul_f16_sdwa v52, v26, s30 dst_sel:DWORD dst_unused:UNUSED_PAD src0_sel:WORD_1 src1_sel:DWORD
	s_mov_b32 s23, 0xb836
	v_fma_f16 v31, v34, s19, v52
	s_mov_b32 s24, 0xbacd
	v_mul_f16_sdwa v66, v26, s23 dst_sel:DWORD dst_unused:UNUSED_PAD src0_sel:WORD_1 src1_sel:DWORD
	v_pk_add_f16 v35, v3, v6 neg_lo:[0,1] neg_hi:[0,1]
	v_add_f16_e32 v29, v31, v29
	v_fma_f16 v31, v34, s24, v66
	v_pk_add_f16 v37, v6, v3
	v_mul_f16_sdwa v55, v35, s27 dst_sel:DWORD dst_unused:UNUSED_PAD src0_sel:WORD_1 src1_sel:DWORD
	s_movk_i32 s34, 0x3a62
	v_add_f16_e32 v30, v31, v30
	v_fma_f16 v31, v37, s9, v55
	v_mul_f16_sdwa v71, v35, s34 dst_sel:DWORD dst_unused:UNUSED_PAD src0_sel:WORD_1 src1_sel:DWORD
	v_pk_add_f16 v39, v4, v5 neg_lo:[0,1] neg_hi:[0,1]
	v_add_f16_e32 v29, v31, v29
	v_fma_f16 v31, v37, s16, v71
	v_pk_add_f16 v41, v5, v4
	v_mul_f16_sdwa v59, v39, s23 dst_sel:DWORD dst_unused:UNUSED_PAD src0_sel:WORD_1 src1_sel:DWORD
	v_add_f16_e32 v31, v31, v30
	v_fma_f16 v30, v41, s24, v59
	v_mul_f16_sdwa v76, v39, s20 dst_sel:DWORD dst_unused:UNUSED_PAD src0_sel:WORD_1 src1_sel:DWORD
	v_add_f16_e32 v30, v30, v29
	v_fma_f16 v29, v41, s21, v76
	v_mul_f16_sdwa v57, v14, s30 dst_sel:DWORD dst_unused:UNUSED_PAD src0_sel:WORD_1 src1_sel:DWORD
	s_mov_b32 s35, 0xb964
	v_add_f16_e32 v29, v29, v31
	v_fma_f16 v31, v17, s19, v57
	v_mul_f16_sdwa v58, v19, s35 dst_sel:DWORD dst_unused:UNUSED_PAD src0_sel:WORD_1 src1_sel:DWORD
	v_add_f16_e32 v31, v31, v0
	v_fma_f16 v32, v40, s21, v58
	v_lshrrev_b32_e32 v80, 16, v17
	v_mul_f16_e32 v62, 0xb964, v14
	v_add_f16_e32 v31, v32, v31
	v_fma_f16 v32, v80, s21, -v62
	v_mul_f16_e32 v64, 0xbbf7, v19
	v_add_f16_sdwa v32, v32, v0 dst_sel:DWORD dst_unused:UNUSED_PAD src0_sel:DWORD src1_sel:WORD_1
	v_fma_f16 v45, v18, s9, -v64
	v_mul_f16_e32 v82, 0xbb29, v14
	v_add_f16_e32 v32, v45, v32
	v_fma_f16 v45, v80, s8, -v82
	v_mul_f16_e32 v81, 0xba62, v19
	v_add_f16_sdwa v45, v45, v0 dst_sel:DWORD dst_unused:UNUSED_PAD src0_sel:DWORD src1_sel:WORD_1
	v_fma_f16 v46, v18, s16, -v81
	v_mul_f16_e32 v108, 0xbbf7, v14
	v_add_f16_e32 v45, v46, v45
	v_fma_f16 v46, v80, s9, -v108
	v_mul_f16_e32 v109, 0xb1e1, v19
	v_add_f16_sdwa v46, v46, v0 dst_sel:DWORD dst_unused:UNUSED_PAD src0_sel:DWORD src1_sel:WORD_1
	v_fma_f16 v47, v18, s17, -v109
	v_mul_f16_sdwa v60, v20, s26 dst_sel:DWORD dst_unused:UNUSED_PAD src0_sel:WORD_1 src1_sel:DWORD
	v_add_f16_e32 v46, v47, v46
	v_fma_f16 v47, v21, s8, v60
	v_lshrrev_b32_e32 v78, 16, v21
	v_mul_f16_e32 v67, 0xba62, v20
	v_add_f16_e32 v31, v47, v31
	v_fma_f16 v47, v78, s16, -v67
	v_mul_f16_e32 v88, 0x31e1, v20
	v_add_f16_e32 v32, v47, v32
	v_fma_f16 v47, v78, s17, -v88
	;; [unrolled: 3-line block ×3, first 2 shown]
	v_mul_f16_sdwa v63, v22, s27 dst_sel:DWORD dst_unused:UNUSED_PAD src0_sel:WORD_1 src1_sel:DWORD
	v_add_f16_e32 v46, v47, v46
	v_fma_f16 v47, v23, s9, v63
	v_lshrrev_b32_e32 v77, 16, v23
	v_mul_f16_e32 v69, 0xb1e1, v22
	v_add_f16_e32 v31, v47, v31
	v_fma_f16 v47, v77, s17, -v69
	v_mul_f16_e32 v91, 0x3bb2, v22
	v_add_f16_e32 v32, v47, v32
	v_fma_f16 v47, v77, s18, -v91
	v_mul_f16_e32 v112, 0x35c8, v22
	s_mov_b32 s25, 0xbbb2
	v_add_f16_e32 v45, v47, v45
	v_fma_f16 v47, v77, s19, -v112
	v_mul_f16_sdwa v65, v24, s25 dst_sel:DWORD dst_unused:UNUSED_PAD src0_sel:WORD_1 src1_sel:DWORD
	v_add_f16_e32 v46, v47, v46
	v_fma_f16 v47, v33, s18, v65
	v_lshrrev_b32_e32 v79, 16, v33
	v_mul_f16_e32 v72, 0x3836, v24
	v_add_f16_e32 v31, v47, v31
	v_fma_f16 v47, v79, s24, -v72
	v_mul_f16_e32 v95, 0x3964, v24
	v_add_f16_e32 v32, v47, v32
	v_fma_f16 v47, v79, s21, -v95
	v_mul_f16_e32 v113, 0xbb29, v24
	v_add_f16_e32 v45, v47, v45
	v_fma_f16 v47, v79, s8, -v113
	v_mul_f16_sdwa v68, v26, s10 dst_sel:DWORD dst_unused:UNUSED_PAD src0_sel:WORD_1 src1_sel:DWORD
	v_add_f16_e32 v46, v47, v46
	v_fma_f16 v47, v34, s16, v68
	v_lshrrev_b32_e32 v83, 16, v34
	v_mul_f16_e32 v73, 0x3bb2, v26
	v_add_f16_e32 v31, v47, v31
	v_fma_f16 v47, v83, s18, -v73
	v_mul_f16_e32 v96, 0xb5c8, v26
	v_add_f16_e32 v32, v47, v32
	v_fma_f16 v47, v83, s19, -v96
	v_mul_f16_e32 v114, 0xb836, v26
	;; [unrolled: 13-line block ×3, first 2 shown]
	s_mov_b32 s4, 0x3b7639e9
	v_add_f16_e32 v48, v32, v45
	v_fma_f16 v32, v87, s16, -v115
	s_mov_b32 s5, 0xb964b5c8
	s_mov_b32 s33, 0xbbf7b964
	v_mul_f16_sdwa v74, v39, s11 dst_sel:DWORD dst_unused:UNUSED_PAD src0_sel:WORD_1 src1_sel:DWORD
	v_pk_mul_f16 v99, v17, s4
	v_lshrrev_b32_e32 v107, 16, v41
	v_mul_f16_e32 v110, 0xb836, v39
	v_add_f16_e32 v51, v32, v46
	s_mov_b32 s28, 0x2de839e9
	s_mov_b32 s36, 0x3722b8d2
	v_fma_f16 v32, v41, s17, v74
	v_pk_fma_f16 v84, v14, s5, v99 op_sel:[0,0,1] op_sel_hi:[1,1,0]
	v_pk_mul_f16 v100, v19, s33
	v_fma_f16 v46, v107, s24, -v110
	v_pk_fma_f16 v99, v14, s5, v99 op_sel:[0,0,1] op_sel_hi:[1,1,0] neg_lo:[1,0,0] neg_hi:[1,0,0]
	s_mov_b32 s37, 0xba62bb29
	s_mov_b32 s38, 0x2de8bbdd
	v_add_f16_e32 v32, v32, v31
	v_pk_fma_f16 v85, v18, s28, v100
	v_add_f16_sdwa v31, v84, v0 dst_sel:DWORD dst_unused:UNUSED_PAD src0_sel:WORD_1 src1_sel:DWORD
	v_pk_mul_f16 v101, v21, s36
	v_add_f16_e32 v46, v46, v48
	v_pk_fma_f16 v100, v18, s28, v100 neg_lo:[0,0,1] neg_hi:[0,0,1]
	v_add_f16_sdwa v48, v99, v0 dst_sel:DWORD dst_unused:UNUSED_PAD src0_sel:DWORD src1_sel:WORD_1
	s_mov_b32 s39, 0xb1e1bbf7
	s_mov_b32 s40, 0xb461bacd
	v_add_f16_sdwa v31, v85, v31 dst_sel:DWORD dst_unused:UNUSED_PAD src0_sel:WORD_1 src1_sel:DWORD
	v_pk_fma_f16 v86, v20, s37, v101 op_sel:[0,0,1] op_sel_hi:[1,1,0]
	v_pk_mul_f16 v102, v23, s38
	v_pk_fma_f16 v101, v20, s37, v101 op_sel:[0,0,1] op_sel_hi:[1,1,0] neg_lo:[1,0,0] neg_hi:[1,0,0]
	v_add_f16_e32 v48, v100, v48
	s_mov_b32 s41, 0x3836bbb2
	s_mov_b32 s42, 0xb8d2b461
	v_add_f16_sdwa v31, v86, v31 dst_sel:DWORD dst_unused:UNUSED_PAD src0_sel:WORD_1 src1_sel:DWORD
	v_pk_fma_f16 v89, v22, s39, v102 op_sel:[0,0,1] op_sel_hi:[1,1,0]
	v_pk_mul_f16 v103, v33, s40
	v_pk_fma_f16 v102, v22, s39, v102 op_sel:[0,0,1] op_sel_hi:[1,1,0] neg_lo:[1,0,0] neg_hi:[1,0,0]
	v_add_f16_e32 v48, v101, v48
	s_mov_b32 s43, 0x3bb2ba62
	s_mov_b32 s44, 0xbacd3722
	v_add_f16_sdwa v31, v89, v31 dst_sel:DWORD dst_unused:UNUSED_PAD src0_sel:WORD_1 src1_sel:DWORD
	v_pk_fma_f16 v90, v24, s41, v103 op_sel:[0,0,1] op_sel_hi:[1,1,0]
	v_pk_mul_f16 v104, v34, s42
	v_pk_fma_f16 v103, v24, s41, v103 op_sel:[0,0,1] op_sel_hi:[1,1,0] neg_lo:[1,0,0] neg_hi:[1,0,0]
	v_add_f16_e32 v48, v102, v48
	s_mov_b32 s45, 0x3b29b836
	s_mov_b32 s46, 0xbbdd3b76
	v_add_f16_sdwa v31, v90, v31 dst_sel:DWORD dst_unused:UNUSED_PAD src0_sel:WORD_1 src1_sel:DWORD
	v_pk_fma_f16 v92, v26, s43, v104 op_sel:[0,0,1] op_sel_hi:[1,1,0]
	v_pk_mul_f16 v105, v37, s44
	v_mul_f16_e32 v97, 0x35c8, v39
	v_pk_fma_f16 v104, v26, s43, v104 op_sel:[0,0,1] op_sel_hi:[1,1,0] neg_lo:[1,0,0] neg_hi:[1,0,0]
	v_add_f16_e32 v48, v103, v48
	s_mov_b32 s47, 0x35c8b1e1
	v_add_f16_sdwa v31, v92, v31 dst_sel:DWORD dst_unused:UNUSED_PAD src0_sel:WORD_1 src1_sel:DWORD
	v_pk_fma_f16 v93, v35, s45, v105 op_sel:[0,0,1] op_sel_hi:[1,1,0]
	v_pk_mul_f16 v106, v41, s46
	v_fma_f16 v45, v107, s19, -v97
	v_mul_f16_e32 v116, 0x3964, v39
	v_pk_fma_f16 v105, v35, s45, v105 op_sel:[0,0,1] op_sel_hi:[1,1,0] neg_lo:[1,0,0] neg_hi:[1,0,0]
	v_add_f16_e32 v48, v104, v48
	v_add_f16_sdwa v31, v93, v31 dst_sel:DWORD dst_unused:UNUSED_PAD src0_sel:WORD_1 src1_sel:DWORD
	v_pk_fma_f16 v94, v39, s47, v106 op_sel:[0,0,1] op_sel_hi:[1,1,0]
	v_add_f16_e32 v45, v45, v47
	v_fma_f16 v47, v107, s21, -v116
	v_pk_fma_f16 v106, v39, s47, v106 op_sel:[0,0,1] op_sel_hi:[1,1,0] neg_lo:[1,0,0] neg_hi:[1,0,0]
	v_add_f16_e32 v48, v105, v48
	v_add_f16_sdwa v31, v94, v31 dst_sel:DWORD dst_unused:UNUSED_PAD src0_sel:WORD_1 src1_sel:DWORD
	v_add_f16_e32 v47, v47, v51
	s_movk_i32 s36, 0x3836
	s_movk_i32 s28, 0x3b29
	v_add_f16_e32 v48, v106, v48
	v_mul_lo_u16_e32 v178, 17, v192
	s_barrier
	s_and_saveexec_b64 s[4:5], s[0:1]
	s_cbranch_execz .LBB0_7
; %bb.6:
	v_mul_f16_e32 v117, 0xb461, v80
	v_fma_f16 v118, v14, s29, v117
	v_mul_f16_e32 v119, 0xbacd, v18
	v_add_f16_sdwa v118, v118, v0 dst_sel:DWORD dst_unused:UNUSED_PAD src0_sel:DWORD src1_sel:WORD_1
	v_fma_f16 v120, v19, s23, v119
	v_add_f16_e32 v118, v120, v118
	v_mul_f16_e32 v120, 0x39e9, v78
	v_fma_f16 v121, v20, s35, v120
	v_add_f16_e32 v118, v121, v118
	v_mul_f16_e32 v121, 0x3722, v77
	;; [unrolled: 3-line block ×6, first 2 shown]
	v_fma_f16 v126, v39, s34, v125
	v_fma_f16 v117, v14, s25, v117
	v_add_f16_e32 v118, v126, v118
	v_mul_f16_sdwa v126, v14, s25 dst_sel:DWORD dst_unused:UNUSED_PAD src0_sel:WORD_1 src1_sel:DWORD
	v_add_f16_sdwa v117, v117, v0 dst_sel:DWORD dst_unused:UNUSED_PAD src0_sel:DWORD src1_sel:WORD_1
	v_fma_f16 v119, v19, s36, v119
	v_fma_f16 v127, v17, s18, v126
	v_mul_f16_sdwa v128, v19, s36 dst_sel:DWORD dst_unused:UNUSED_PAD src0_sel:WORD_1 src1_sel:DWORD
	v_add_f16_e32 v117, v119, v117
	v_fma_f16 v119, v20, s20, v120
	v_add_f16_e32 v127, v127, v0
	v_fma_f16 v129, v40, s24, v128
	;; [unrolled: 2-line block ×3, first 2 shown]
	v_add_f16_e32 v127, v129, v127
	v_mul_f16_sdwa v129, v20, s20 dst_sel:DWORD dst_unused:UNUSED_PAD src0_sel:WORD_1 src1_sel:DWORD
	s_movk_i32 s33, 0x3bf7
	v_add_f16_e32 v117, v119, v117
	v_fma_f16 v119, v24, s11, v122
	v_fma_f16 v130, v21, s21, v129
	v_add_f16_e32 v117, v119, v117
	v_fma_f16 v119, v26, s33, v123
	v_add_f16_e32 v127, v130, v127
	v_mul_f16_sdwa v130, v22, s26 dst_sel:DWORD dst_unused:UNUSED_PAD src0_sel:WORD_1 src1_sel:DWORD
	v_add_f16_e32 v117, v119, v117
	v_fma_f16 v119, v35, s30, v124
	v_fma_f16 v131, v23, s8, v130
	v_add_f16_e32 v117, v119, v117
	v_fma_f16 v119, v39, s10, v125
	v_add_f16_e32 v127, v131, v127
	v_mul_f16_sdwa v131, v24, s11 dst_sel:DWORD dst_unused:UNUSED_PAD src0_sel:WORD_1 src1_sel:DWORD
	v_add_f16_e32 v117, v119, v117
	v_fma_f16 v119, v17, s18, -v126
	v_fma_f16 v132, v33, s17, v131
	v_add_f16_e32 v119, v119, v0
	v_fma_f16 v120, v40, s24, -v128
	v_add_f16_e32 v127, v132, v127
	v_mul_f16_sdwa v132, v26, s33 dst_sel:DWORD dst_unused:UNUSED_PAD src0_sel:WORD_1 src1_sel:DWORD
	v_add_f16_e32 v119, v120, v119
	v_fma_f16 v120, v21, s21, -v129
	v_fma_f16 v133, v34, s9, v132
	v_add_f16_e32 v119, v120, v119
	v_fma_f16 v120, v23, s8, -v130
	;; [unrolled: 7-line block ×3, first 2 shown]
	v_add_f16_e32 v127, v134, v127
	v_mul_f16_sdwa v134, v39, s10 dst_sel:DWORD dst_unused:UNUSED_PAD src0_sel:WORD_1 src1_sel:DWORD
	v_add_f16_e32 v119, v120, v119
	v_fma_f16 v120, v37, s19, -v133
	v_add_f16_e32 v119, v120, v119
	v_fma_f16 v120, v41, s16, -v134
	v_add_f16_e32 v119, v120, v119
	v_mul_f16_e32 v120, 0x2de8, v80
	v_add_f16_e32 v108, v108, v120
	v_mul_f16_e32 v120, 0xbbdd, v18
	v_add_f16_e32 v109, v109, v120
	v_add_f16_sdwa v108, v108, v0 dst_sel:DWORD dst_unused:UNUSED_PAD src0_sel:DWORD src1_sel:WORD_1
	v_fma_f16 v135, v41, s16, v134
	v_add_f16_e32 v108, v109, v108
	v_mul_f16_e32 v109, 0xb461, v78
	v_add_f16_e32 v127, v135, v127
	v_mul_f16_e32 v135, 0xb8d2, v80
	v_add_f16_e32 v109, v111, v109
	v_fma_f16 v136, v14, s34, v135
	v_mul_f16_e32 v137, 0xb461, v18
	v_add_f16_e32 v108, v109, v108
	v_mul_f16_e32 v109, 0x3b76, v77
	v_add_f16_sdwa v136, v136, v0 dst_sel:DWORD dst_unused:UNUSED_PAD src0_sel:DWORD src1_sel:WORD_1
	v_fma_f16 v138, v19, s25, v137
	v_add_f16_e32 v109, v112, v109
	v_add_f16_e32 v136, v138, v136
	v_mul_f16_e32 v138, 0x3b76, v78
	v_add_f16_e32 v108, v109, v108
	v_mul_f16_e32 v109, 0x3722, v79
	v_fma_f16 v139, v20, s22, v138
	v_add_f16_e32 v109, v113, v109
	v_add_f16_e32 v136, v139, v136
	v_mul_f16_e32 v139, 0xbacd, v77
	v_add_f16_e32 v108, v109, v108
	v_mul_f16_e32 v109, 0xbacd, v83
	;; [unrolled: 6-line block ×5, first 2 shown]
	v_fma_f16 v143, v35, s31, v142
	v_sub_f16_e32 v43, v109, v43
	v_mul_f16_e32 v109, 0xbbdd, v40
	v_add_f16_e32 v136, v143, v136
	v_mul_f16_e32 v143, 0x3722, v107
	v_sub_f16_e32 v53, v109, v53
	v_add_f16_e32 v43, v43, v0
	v_fma_f16 v144, v39, s26, v143
	v_add_f16_e32 v43, v53, v43
	v_mul_f16_e32 v53, 0xb461, v21
	v_add_f16_e32 v136, v144, v136
	v_mul_f16_sdwa v144, v14, s10 dst_sel:DWORD dst_unused:UNUSED_PAD src0_sel:WORD_1 src1_sel:DWORD
	v_sub_f16_e32 v53, v53, v54
	v_fma_f16 v145, v17, s16, v144
	v_mul_f16_sdwa v146, v19, s29 dst_sel:DWORD dst_unused:UNUSED_PAD src0_sel:WORD_1 src1_sel:DWORD
	v_add_f16_e32 v43, v53, v43
	v_mul_f16_e32 v53, 0x3b76, v23
	v_add_f16_e32 v145, v145, v0
	v_fma_f16 v147, v40, s18, v146
	v_sub_f16_e32 v53, v53, v56
	v_add_f16_e32 v145, v147, v145
	v_mul_f16_sdwa v147, v20, s30 dst_sel:DWORD dst_unused:UNUSED_PAD src0_sel:WORD_1 src1_sel:DWORD
	v_add_f16_e32 v43, v53, v43
	v_mul_f16_e32 v53, 0x3722, v33
	v_fma_f16 v148, v21, s19, v147
	v_sub_f16_e32 v53, v53, v61
	v_add_f16_e32 v145, v148, v145
	v_mul_f16_sdwa v148, v22, s23 dst_sel:DWORD dst_unused:UNUSED_PAD src0_sel:WORD_1 src1_sel:DWORD
	v_add_f16_e32 v43, v53, v43
	v_mul_f16_e32 v53, 0xbacd, v34
	;; [unrolled: 6-line block ×3, first 2 shown]
	v_mul_f16_e32 v66, 0x3722, v80
	v_fma_f16 v150, v33, s9, v149
	v_sub_f16_e32 v53, v53, v71
	v_add_f16_e32 v66, v82, v66
	v_mul_f16_e32 v71, 0xb8d2, v18
	v_add_f16_e32 v145, v150, v145
	v_mul_f16_sdwa v150, v26, s35 dst_sel:DWORD dst_unused:UNUSED_PAD src0_sel:WORD_1 src1_sel:DWORD
	v_add_f16_e32 v71, v81, v71
	v_add_f16_sdwa v66, v66, v0 dst_sel:DWORD dst_unused:UNUSED_PAD src0_sel:DWORD src1_sel:WORD_1
	v_fma_f16 v151, v34, s21, v150
	v_add_f16_e32 v66, v71, v66
	v_mul_f16_e32 v71, 0xbbdd, v78
	v_add_f16_e32 v145, v151, v145
	v_mul_f16_sdwa v151, v35, s11 dst_sel:DWORD dst_unused:UNUSED_PAD src0_sel:WORD_1 src1_sel:DWORD
	v_add_f16_e32 v71, v88, v71
	v_fma_f16 v152, v37, s17, v151
	v_add_f16_e32 v66, v71, v66
	v_mul_f16_e32 v71, 0xb461, v77
	v_add_f16_e32 v145, v152, v145
	v_mul_f16_sdwa v152, v39, s28 dst_sel:DWORD dst_unused:UNUSED_PAD src0_sel:WORD_1 src1_sel:DWORD
	v_add_f16_e32 v71, v91, v71
	v_fma_f16 v153, v41, s8, v152
	v_add_f16_e32 v66, v71, v66
	v_mul_f16_e32 v71, 0x39e9, v79
	v_add_f16_e32 v145, v153, v145
	v_mul_f16_e32 v153, 0xbacd, v80
	v_add_f16_e32 v71, v95, v71
	v_fma_f16 v154, v14, s36, v153
	v_mul_f16_e32 v155, 0x3722, v18
	v_add_f16_e32 v43, v53, v43
	v_mul_f16_e32 v53, 0x39e9, v41
	v_add_f16_e32 v66, v71, v66
	v_mul_f16_e32 v71, 0x3b76, v83
	v_add_f16_sdwa v154, v154, v0 dst_sel:DWORD dst_unused:UNUSED_PAD src0_sel:DWORD src1_sel:WORD_1
	v_fma_f16 v156, v19, s26, v155
	v_fma_f16 v153, v14, s23, v153
	;; [unrolled: 1-line block ×3, first 2 shown]
	v_sub_f16_e32 v53, v53, v76
	v_add_f16_e32 v71, v96, v71
	v_add_f16_e32 v154, v156, v154
	v_mul_f16_e32 v156, 0x2de8, v78
	v_mul_f16_sdwa v164, v19, s28 dst_sel:DWORD dst_unused:UNUSED_PAD src0_sel:WORD_1 src1_sel:DWORD
	v_add_f16_sdwa v153, v153, v0 dst_sel:DWORD dst_unused:UNUSED_PAD src0_sel:DWORD src1_sel:WORD_1
	v_fma_f16 v155, v19, s28, v155
	v_add_f16_sdwa v135, v135, v0 dst_sel:DWORD dst_unused:UNUSED_PAD src0_sel:DWORD src1_sel:WORD_1
	v_fma_f16 v137, v19, s29, v137
	v_add_f16_e32 v43, v53, v43
	v_mul_f16_e32 v53, 0x3722, v17
	v_add_f16_e32 v66, v71, v66
	v_mul_f16_e32 v71, 0x2de8, v87
	v_fma_f16 v157, v20, s33, v156
	v_fma_f16 v165, v40, s8, v164
	v_add_f16_e32 v153, v155, v153
	v_fma_f16 v155, v20, s27, v156
	v_fma_f16 v156, v40, s8, -v164
	v_add_f16_e32 v135, v137, v135
	v_fma_f16 v137, v20, s30, v138
	v_fma_f16 v138, v40, s18, -v146
	v_mul_f16_e32 v76, 0x39e9, v40
	v_mul_f16_e32 v40, 0xb8d2, v40
	v_add_f16_e32 v71, v98, v71
	v_sub_f16_e32 v27, v53, v27
	v_mul_f16_e32 v82, 0xbbdd, v21
	v_add_f16_e32 v66, v71, v66
	v_mul_f16_e32 v71, 0xbacd, v107
	v_sub_f16_e32 v36, v40, v36
	v_add_f16_e32 v27, v27, v0
	v_add_f16_e32 v154, v157, v154
	v_mul_f16_e32 v157, 0xb8d2, v77
	v_mul_f16_e32 v91, 0xb461, v23
	v_add_f16_e32 v71, v110, v71
	v_add_f16_e32 v27, v36, v27
	v_sub_f16_e32 v38, v82, v38
	v_fma_f16 v158, v22, s10, v157
	v_add_f16_e32 v66, v71, v66
	v_mul_f16_e32 v71, 0x39e9, v33
	v_add_f16_e32 v27, v38, v27
	v_sub_f16_e32 v42, v91, v42
	v_add_f16_e32 v154, v158, v154
	v_mul_f16_e32 v158, 0x3b76, v79
	v_mul_f16_e32 v40, 0x3b76, v34
	v_add_f16_e32 v27, v42, v27
	v_sub_f16_e32 v42, v71, v44
	v_fma_f16 v159, v24, s22, v158
	v_mul_f16_e32 v82, 0x2de8, v37
	v_add_f16_e32 v27, v42, v27
	v_sub_f16_e32 v40, v40, v52
	v_add_f16_e32 v154, v159, v154
	v_mul_f16_e32 v159, 0xbbdd, v83
	v_mul_f16_e32 v91, 0xbacd, v41
	v_add_f16_e32 v27, v40, v27
	v_sub_f16_e32 v40, v82, v55
	v_fma_f16 v160, v26, s31, v159
	v_mul_f16_e32 v61, 0x39e9, v80
	v_add_f16_e32 v27, v40, v27
	v_sub_f16_e32 v40, v91, v59
	v_add_f16_e32 v154, v160, v154
	v_mul_f16_e32 v160, 0x39e9, v87
	v_mul_f16_e32 v80, 0x2de8, v18
	v_add_f16_e32 v27, v40, v27
	v_add_f16_e32 v40, v62, v61
	v_fma_f16 v161, v35, s35, v160
	v_mul_f16_e32 v78, 0xb8d2, v78
	v_add_f16_sdwa v40, v40, v0 dst_sel:DWORD dst_unused:UNUSED_PAD src0_sel:DWORD src1_sel:WORD_1
	v_add_f16_e32 v42, v64, v80
	v_add_f16_e32 v154, v161, v154
	v_mul_f16_e32 v161, 0xb461, v107
	v_mul_f16_e32 v77, 0xbbdd, v77
	v_add_f16_e32 v40, v42, v40
	v_add_f16_e32 v42, v67, v78
	v_fma_f16 v162, v39, s29, v161
	v_add_f16_e32 v153, v155, v153
	v_fma_f16 v155, v22, s34, v157
	;; [unrolled: 2-line block ×3, first 2 shown]
	v_alignbit_b32 v54, v0, v0, 16
	v_mul_f16_e32 v79, 0xbacd, v79
	v_add_f16_e32 v40, v42, v40
	v_add_f16_e32 v42, v69, v77
	;; [unrolled: 1-line block ×3, first 2 shown]
	v_mul_f16_sdwa v162, v14, s23 dst_sel:DWORD dst_unused:UNUSED_PAD src0_sel:WORD_1 src1_sel:DWORD
	v_add_f16_e32 v153, v155, v153
	v_fma_f16 v155, v24, s30, v158
	v_add_f16_e32 v135, v137, v135
	v_fma_f16 v137, v24, s33, v140
	v_alignbit_b32 v25, v25, v25, 16
	v_mul_f16_e32 v83, 0xb461, v83
	v_add_f16_e32 v40, v42, v40
	v_add_f16_e32 v42, v72, v79
	v_pk_add_f16 v1, v1, v54 op_sel:[0,1] op_sel_hi:[1,0]
	v_fma_f16 v163, v17, s24, v162
	v_add_f16_e32 v153, v155, v153
	v_fma_f16 v155, v26, s11, v159
	v_add_f16_e32 v135, v137, v135
	v_fma_f16 v137, v26, s35, v141
	v_mul_f16_e32 v87, 0x3722, v87
	v_add_f16_e32 v40, v42, v40
	v_add_f16_e32 v42, v73, v83
	v_pk_add_f16 v1, v25, v1
	v_add_f16_e32 v163, v163, v0
	v_add_f16_e32 v153, v155, v153
	v_fma_f16 v155, v35, s20, v160
	v_add_f16_e32 v135, v137, v135
	v_fma_f16 v137, v35, s11, v142
	v_mul_f16_e32 v96, 0x3b76, v107
	v_add_f16_e32 v40, v42, v40
	v_add_f16_e32 v42, v75, v87
	v_pk_add_f16 v1, v15, v1
	v_add_f16_e32 v163, v165, v163
	v_mul_f16_sdwa v165, v20, s27 dst_sel:DWORD dst_unused:UNUSED_PAD src0_sel:WORD_1 src1_sel:DWORD
	v_add_f16_e32 v153, v155, v153
	v_fma_f16 v155, v39, s25, v161
	v_add_f16_e32 v135, v137, v135
	v_fma_f16 v137, v39, s28, v143
	v_mul_f16_e32 v56, 0x3b76, v17
	v_add_f16_e32 v40, v42, v40
	v_add_f16_e32 v42, v97, v96
	s_mov_b32 s26, 0xffff
	v_pk_add_f16 v1, v12, v1
	v_fma_f16 v166, v21, s9, v165
	v_add_f16_e32 v153, v155, v153
	v_fma_f16 v155, v17, s24, -v162
	v_add_f16_e32 v135, v137, v135
	v_fma_f16 v137, v17, s16, -v144
	v_add_f16_e32 v40, v42, v40
	v_bfi_b32 v42, s26, v84, v99
	v_sub_f16_e32 v56, v56, v57
	v_pk_add_f16 v1, v13, v1
	v_add_f16_e32 v163, v166, v163
	v_mul_f16_sdwa v166, v22, s34 dst_sel:DWORD dst_unused:UNUSED_PAD src0_sel:WORD_1 src1_sel:DWORD
	v_add_f16_e32 v155, v155, v0
	v_add_f16_e32 v137, v137, v0
	v_mul_f16_e32 v81, 0x3722, v21
	v_bfi_b32 v44, s26, v85, v100
	v_add_f16_e32 v0, v56, v0
	v_sub_f16_e32 v56, v76, v58
	v_pk_add_f16 v1, v2, v1
	v_pk_add_f16 v2, v42, v54
	v_fma_f16 v167, v23, s16, v166
	v_mul_f16_e32 v88, 0x2de8, v23
	v_bfi_b32 v52, s26, v86, v101
	v_add_f16_e32 v0, v56, v0
	v_sub_f16_e32 v56, v81, v60
	v_pk_add_f16 v2, v44, v2
	v_add_f16_e32 v163, v167, v163
	v_mul_f16_sdwa v167, v24, s30 dst_sel:DWORD dst_unused:UNUSED_PAD src0_sel:WORD_1 src1_sel:DWORD
	v_mul_f16_e32 v95, 0xb461, v33
	v_bfi_b32 v55, s26, v89, v102
	v_add_f16_e32 v0, v56, v0
	v_sub_f16_e32 v56, v88, v63
	v_pk_add_f16 v1, v3, v1
	v_pk_add_f16 v2, v52, v2
	v_fma_f16 v168, v33, s19, v167
	v_add_f16_e32 v137, v138, v137
	v_fma_f16 v138, v21, s19, -v147
	v_mul_f16_e32 v53, 0xb8d2, v34
	v_bfi_b32 v59, s26, v90, v103
	v_add_f16_e32 v0, v56, v0
	v_sub_f16_e32 v56, v95, v65
	v_pk_add_f16 v1, v4, v1
	v_pk_add_f16 v2, v55, v2
	v_add_f16_e32 v163, v168, v163
	v_mul_f16_sdwa v168, v26, s11 dst_sel:DWORD dst_unused:UNUSED_PAD src0_sel:WORD_1 src1_sel:DWORD
	v_add_f16_e32 v155, v156, v155
	v_fma_f16 v156, v21, s9, -v165
	v_add_f16_e32 v137, v138, v137
	v_fma_f16 v138, v23, s24, -v148
	v_mul_f16_e32 v36, 0xbacd, v37
	v_bfi_b32 v61, s26, v92, v104
	v_add_f16_e32 v0, v56, v0
	v_sub_f16_e32 v53, v53, v68
	v_pk_add_f16 v1, v5, v1
	v_pk_add_f16 v2, v59, v2
	v_fma_f16 v169, v34, s17, v168
	v_add_f16_e32 v155, v156, v155
	v_fma_f16 v156, v23, s16, -v166
	v_add_f16_e32 v137, v138, v137
	v_fma_f16 v138, v33, s9, -v149
	v_mul_f16_e32 v38, 0xbbdd, v41
	v_bfi_b32 v62, s26, v93, v105
	v_add_f16_e32 v0, v53, v0
	v_sub_f16_e32 v36, v36, v70
	v_pk_add_f16 v1, v6, v1
	v_pk_add_f16 v2, v61, v2
	v_add_f16_e32 v163, v169, v163
	v_mul_f16_sdwa v169, v35, s20 dst_sel:DWORD dst_unused:UNUSED_PAD src0_sel:WORD_1 src1_sel:DWORD
	v_add_f16_e32 v155, v156, v155
	v_fma_f16 v156, v33, s19, -v167
	v_add_f16_e32 v137, v138, v137
	v_fma_f16 v138, v34, s21, -v150
	v_bfi_b32 v64, s26, v94, v106
	v_add_f16_e32 v0, v36, v0
	v_sub_f16_e32 v36, v38, v74
	v_pk_add_f16 v1, v7, v1
	v_pk_add_f16 v2, v62, v2
	v_fma_f16 v170, v37, s21, v169
	v_add_f16_e32 v155, v156, v155
	v_fma_f16 v156, v34, s17, -v168
	v_add_f16_e32 v137, v138, v137
	v_fma_f16 v138, v37, s17, -v151
	v_add_f16_e32 v0, v36, v0
	v_pk_add_f16 v1, v8, v1
	v_pk_add_f16 v2, v64, v2
	v_add_f16_e32 v163, v170, v163
	v_mul_f16_sdwa v170, v39, s25 dst_sel:DWORD dst_unused:UNUSED_PAD src0_sel:WORD_1 src1_sel:DWORD
	v_add_f16_e32 v155, v156, v155
	v_fma_f16 v156, v37, s21, -v169
	v_add_f16_e32 v137, v138, v137
	v_fma_f16 v138, v41, s8, -v152
	v_lshlrev_b32_e32 v12, 2, v178
	v_pk_add_f16 v1, v9, v1
	v_alignbit_b32 v3, v40, v2, 16
	v_pack_b32_f16 v0, v0, v2
	v_add_f16_e32 v155, v156, v155
	v_fma_f16 v156, v41, s18, -v170
	v_add_f16_e32 v137, v138, v137
	v_pk_add_f16 v1, v10, v1
	ds_write2_b32 v12, v0, v3 offset0:1 offset1:2
	v_pack_b32_f16 v0, v43, v108
	v_pack_b32_f16 v2, v27, v66
	v_add_f16_e32 v155, v156, v155
	v_pk_add_f16 v1, v11, v1
	ds_write2_b32 v12, v2, v0 offset0:3 offset1:4
	v_pack_b32_f16 v0, v137, v135
	v_pack_b32_f16 v2, v119, v117
	v_pk_add_f16 v1, v16, v1
	ds_write2_b32 v12, v2, v0 offset0:5 offset1:6
	v_pack_b32_f16 v0, v155, v153
	ds_write2_b32 v12, v1, v0 offset1:7
	v_pk_mul_f16 v0, v17, s17 op_sel_hi:[1,0]
	v_pk_fma_f16 v1, v14, s11, v0 op_sel:[0,0,1] op_sel_hi:[1,0,0] neg_lo:[1,0,0] neg_hi:[1,0,0]
	v_pk_mul_f16 v2, v19, s22 op_sel_hi:[1,0]
	v_pk_add_f16 v1, v1, v54
	v_pk_fma_f16 v3, v18, s19, v2 op_sel_hi:[1,0,1] neg_lo:[0,0,1] neg_hi:[0,0,1]
	v_pk_add_f16 v1, v3, v1
	v_pk_mul_f16 v3, v21, s24 op_sel_hi:[1,0]
	v_pk_fma_f16 v4, v20, s23, v3 op_sel:[0,0,1] op_sel_hi:[1,0,0] neg_lo:[1,0,0] neg_hi:[1,0,0]
	v_pk_add_f16 v1, v4, v1
	v_pk_mul_f16 v4, v23, s21 op_sel_hi:[1,0]
	v_pk_fma_f16 v5, v22, s20, v4 op_sel:[0,0,1] op_sel_hi:[1,0,0] neg_lo:[1,0,0] neg_hi:[1,0,0]
	v_pk_add_f16 v1, v5, v1
	v_pk_mul_f16 v5, v33, s16 op_sel_hi:[1,0]
	v_pk_fma_f16 v0, v14, s11, v0 op_sel:[0,0,1] op_sel_hi:[1,0,0]
	v_pk_fma_f16 v6, v24, s10, v5 op_sel:[0,0,1] op_sel_hi:[1,0,0] neg_lo:[1,0,0] neg_hi:[1,0,0]
	v_pk_add_f16 v0, v0, v54
	v_pk_fma_f16 v2, v18, s19, v2 op_sel_hi:[1,0,1]
	v_pk_add_f16 v1, v6, v1
	v_pk_mul_f16 v6, v34, s8 op_sel_hi:[1,0]
	v_pk_add_f16 v0, v2, v0
	v_pk_fma_f16 v2, v20, s23, v3 op_sel:[0,0,1] op_sel_hi:[1,0,0]
	v_pk_fma_f16 v7, v26, s28, v6 op_sel:[0,0,1] op_sel_hi:[1,0,0] neg_lo:[1,0,0] neg_hi:[1,0,0]
	v_pk_add_f16 v0, v2, v0
	v_pk_fma_f16 v2, v22, s20, v4 op_sel:[0,0,1] op_sel_hi:[1,0,0]
	v_pk_add_f16 v1, v7, v1
	v_pk_mul_f16 v7, v37, s18 op_sel_hi:[1,0]
	v_pk_add_f16 v0, v2, v0
	v_pk_fma_f16 v2, v24, s10, v5 op_sel:[0,0,1] op_sel_hi:[1,0,0]
	v_pk_fma_f16 v8, v35, s25, v7 op_sel:[0,0,1] op_sel_hi:[1,0,0] neg_lo:[1,0,0] neg_hi:[1,0,0]
	v_pk_add_f16 v0, v2, v0
	v_pk_fma_f16 v2, v26, s28, v6 op_sel:[0,0,1] op_sel_hi:[1,0,0]
	v_pk_add_f16 v1, v8, v1
	v_pk_mul_f16 v8, v41, s9 op_sel_hi:[1,0]
	v_pk_add_f16 v0, v2, v0
	v_pk_fma_f16 v2, v35, s25, v7 op_sel:[0,0,1] op_sel_hi:[1,0,0]
	v_pk_fma_f16 v9, v39, s33, v8 op_sel:[0,0,1] op_sel_hi:[1,0,0] neg_lo:[1,0,0] neg_hi:[1,0,0]
	v_pk_add_f16 v0, v2, v0
	v_pk_fma_f16 v2, v39, s33, v8 op_sel:[0,0,1] op_sel_hi:[1,0,0]
	v_fma_f16 v171, v41, s18, v170
	v_pk_add_f16 v1, v9, v1
	v_pk_add_f16 v0, v2, v0
	v_add_f16_e32 v163, v171, v163
	v_alignbit_b32 v2, v1, v0, 16
	v_alignbit_b32 v0, v0, v1, 16
	ds_write2_b32 v12, v0, v2 offset0:8 offset1:9
	v_pack_b32_f16 v0, v145, v136
	v_pack_b32_f16 v1, v163, v154
	s_mov_b32 s8, 0x5040100
	ds_write2_b32 v12, v1, v0 offset0:10 offset1:11
	v_pack_b32_f16 v0, v127, v118
	v_perm_b32 v1, v47, v29, s8
	ds_write2_b32 v12, v0, v1 offset0:12 offset1:13
	v_perm_b32 v0, v45, v31, s8
	v_perm_b32 v1, v46, v30, s8
	ds_write2_b32 v12, v1, v0 offset0:14 offset1:15
	v_perm_b32 v0, v48, v32, s8
	ds_write_b32 v12, v0 offset:64
.LBB0_7:
	s_or_b64 exec, exec, s[4:5]
	s_load_dwordx4 s[8:11], s[2:3], 0x0
	s_movk_i32 s2, 0xf1
	v_mul_lo_u16_sdwa v0, v192, s2 dst_sel:DWORD dst_unused:UNUSED_PAD src0_sel:BYTE_0 src1_sel:DWORD
	v_lshrrev_b16_e32 v1, 12, v0
	v_mul_lo_u16_e32 v0, 17, v1
	v_sub_u16_e32 v0, v192, v0
	v_and_b32_e32 v2, 0xff, v0
	v_mul_u32_u24_e32 v0, 12, v2
	v_lshlrev_b32_e32 v0, 2, v0
	s_waitcnt lgkmcnt(0)
	s_barrier
	global_load_dwordx4 v[8:11], v0, s[14:15]
	global_load_dwordx4 v[12:15], v0, s[14:15] offset:16
	global_load_dwordx4 v[16:19], v0, s[14:15] offset:32
	ds_read2_b32 v[3:4], v49 offset1:153
	v_add_u32_e32 v5, 0x400, v49
	v_add_u32_e32 v7, 0x800, v49
	;; [unrolled: 1-line block ×5, first 2 shown]
	ds_read_b32 v33, v49 offset:7344
	ds_read2_b32 v[5:6], v5 offset0:50 offset1:203
	ds_read2_b32 v[20:21], v7 offset0:100 offset1:253
	;; [unrolled: 1-line block ×5, first 2 shown]
	s_waitcnt lgkmcnt(6)
	v_lshrrev_b32_e32 v7, 16, v4
	s_waitcnt lgkmcnt(4)
	v_lshrrev_b32_e32 v35, 16, v5
	v_lshrrev_b32_e32 v36, 16, v6
	s_waitcnt lgkmcnt(3)
	v_lshrrev_b32_e32 v37, 16, v20
	;; [unrolled: 3-line block ×5, first 2 shown]
	v_lshrrev_b32_e32 v44, 16, v27
	v_lshrrev_b32_e32 v34, 16, v33
	s_movk_i32 s4, 0x3b15
	s_movk_i32 s3, 0x388b
	;; [unrolled: 1-line block ×3, first 2 shown]
	s_mov_b32 s5, 0xb5ac
	s_mov_b32 s16, 0xb9fd
	;; [unrolled: 1-line block ×3, first 2 shown]
	v_mul_u32_u24_e32 v1, 0xdd, v1
	s_waitcnt vmcnt(0)
	s_barrier
	v_mul_f16_sdwa v52, v7, v8 dst_sel:DWORD dst_unused:UNUSED_PAD src0_sel:DWORD src1_sel:WORD_1
	v_mul_f16_sdwa v53, v4, v8 dst_sel:DWORD dst_unused:UNUSED_PAD src0_sel:DWORD src1_sel:WORD_1
	;; [unrolled: 1-line block ×4, first 2 shown]
	v_fma_f16 v4, v4, v8, -v52
	v_fma_f16 v7, v7, v8, v53
	v_mul_f16_sdwa v56, v36, v10 dst_sel:DWORD dst_unused:UNUSED_PAD src0_sel:DWORD src1_sel:WORD_1
	v_mul_f16_sdwa v57, v6, v10 dst_sel:DWORD dst_unused:UNUSED_PAD src0_sel:DWORD src1_sel:WORD_1
	v_fma_f16 v5, v5, v9, -v54
	v_fma_f16 v35, v35, v9, v55
	v_add_f16_e32 v52, v3, v4
	v_add_f16_sdwa v53, v3, v7 dst_sel:DWORD dst_unused:UNUSED_PAD src0_sel:WORD_1 src1_sel:DWORD
	v_mul_f16_sdwa v58, v37, v11 dst_sel:DWORD dst_unused:UNUSED_PAD src0_sel:DWORD src1_sel:WORD_1
	v_mul_f16_sdwa v59, v20, v11 dst_sel:DWORD dst_unused:UNUSED_PAD src0_sel:DWORD src1_sel:WORD_1
	v_fma_f16 v6, v6, v10, -v56
	v_fma_f16 v36, v36, v10, v57
	v_add_f16_e32 v52, v52, v5
	v_add_f16_e32 v53, v53, v35
	v_mul_f16_sdwa v60, v38, v12 dst_sel:DWORD dst_unused:UNUSED_PAD src0_sel:DWORD src1_sel:WORD_1
	v_mul_f16_sdwa v61, v21, v12 dst_sel:DWORD dst_unused:UNUSED_PAD src0_sel:DWORD src1_sel:WORD_1
	v_fma_f16 v20, v20, v11, -v58
	v_fma_f16 v37, v37, v11, v59
	v_add_f16_e32 v52, v52, v6
	v_add_f16_e32 v53, v53, v36
	;; [unrolled: 6-line block ×9, first 2 shown]
	v_fma_f16 v33, v33, v19, -v74
	v_fma_f16 v34, v34, v19, v75
	v_add_f16_e32 v52, v52, v27
	v_add_f16_e32 v53, v53, v44
	;; [unrolled: 1-line block ×6, first 2 shown]
	v_sub_f16_e32 v4, v4, v33
	v_sub_f16_e32 v7, v7, v34
	v_mul_f16_e32 v33, 0xb770, v7
	v_mul_f16_e32 v54, 0xb770, v4
	;; [unrolled: 1-line block ×12, first 2 shown]
	v_fma_f16 v34, v52, s4, -v33
	v_fma_f16 v55, v53, s4, v54
	v_fma_f16 v33, v52, s4, v33
	v_fma_f16 v54, v53, s4, -v54
	v_fma_f16 v59, v52, s3, -v58
	v_fma_f16 v61, v53, s3, v60
	v_fma_f16 v58, v52, s3, v58
	v_fma_f16 v60, v53, s3, -v60
	;; [unrolled: 4-line block ×6, first 2 shown]
	v_add_f16_e32 v34, v3, v34
	v_add_f16_sdwa v55, v3, v55 dst_sel:DWORD dst_unused:UNUSED_PAD src0_sel:WORD_1 src1_sel:DWORD
	v_add_f16_e32 v33, v3, v33
	v_add_f16_sdwa v54, v3, v54 dst_sel:DWORD dst_unused:UNUSED_PAD src0_sel:WORD_1 src1_sel:DWORD
	;; [unrolled: 2-line block ×12, first 2 shown]
	v_add_f16_e32 v4, v5, v27
	v_sub_f16_e32 v5, v5, v27
	v_sub_f16_e32 v27, v35, v44
	v_add_f16_e32 v52, v35, v44
	v_mul_f16_e32 v35, 0xba95, v27
	v_fma_f16 v44, v4, s3, -v35
	v_add_f16_e32 v34, v44, v34
	v_mul_f16_e32 v44, 0xba95, v5
	v_fma_f16 v35, v4, s3, v35
	v_fma_f16 v53, v52, s3, v44
	v_add_f16_e32 v33, v35, v33
	v_fma_f16 v35, v52, s3, -v44
	v_mul_f16_e32 v44, 0xbb7b, v27
	v_add_f16_e32 v53, v53, v55
	v_add_f16_e32 v35, v35, v54
	v_fma_f16 v54, v4, s5, -v44
	v_mul_f16_e32 v55, 0xbb7b, v5
	v_fma_f16 v44, v4, s5, v44
	v_add_f16_e32 v54, v54, v59
	v_fma_f16 v59, v52, s5, v55
	v_add_f16_e32 v44, v44, v58
	v_fma_f16 v55, v52, s5, -v55
	v_mul_f16_e32 v58, 0xb3a8, v27
	v_add_f16_e32 v59, v59, v61
	v_add_f16_e32 v55, v55, v60
	v_fma_f16 v60, v4, s17, -v58
	v_mul_f16_e32 v61, 0xb3a8, v5
	v_fma_f16 v58, v4, s17, v58
	v_add_f16_e32 v60, v60, v63
	;; [unrolled: 10-line block ×3, first 2 shown]
	v_fma_f16 v67, v52, s16, v65
	v_add_f16_e32 v62, v62, v66
	v_fma_f16 v65, v52, s16, -v65
	v_mul_f16_e32 v66, 0x3bf1, v27
	v_add_f16_e32 v67, v67, v69
	v_add_f16_e32 v65, v65, v68
	v_fma_f16 v68, v4, s2, -v66
	v_mul_f16_e32 v69, 0x3bf1, v5
	v_add_f16_e32 v68, v68, v71
	v_fma_f16 v71, v52, s2, v69
	v_fma_f16 v69, v52, s2, -v69
	v_mul_f16_e32 v5, 0x3770, v5
	v_add_f16_e32 v69, v69, v72
	v_fma_f16 v72, v52, s4, v5
	v_fma_f16 v5, v52, s4, -v5
	v_fma_f16 v66, v4, s2, v66
	v_mul_f16_e32 v27, 0x3770, v27
	v_add_f16_e32 v3, v5, v3
	v_add_f16_e32 v5, v6, v26
	v_sub_f16_e32 v6, v6, v26
	v_sub_f16_e32 v26, v36, v43
	v_add_f16_e32 v66, v66, v70
	v_fma_f16 v70, v4, s4, -v27
	v_fma_f16 v4, v4, s4, v27
	v_mul_f16_e32 v27, 0xbbf1, v26
	v_add_f16_e32 v4, v4, v7
	v_add_f16_e32 v7, v36, v43
	v_fma_f16 v36, v5, s2, -v27
	v_add_f16_e32 v34, v36, v34
	v_mul_f16_e32 v36, 0xbbf1, v6
	v_fma_f16 v27, v5, s2, v27
	v_add_f16_e32 v27, v27, v33
	v_fma_f16 v33, v7, s2, -v36
	v_add_f16_e32 v33, v33, v35
	v_mul_f16_e32 v35, 0xb3a8, v26
	v_fma_f16 v43, v7, s2, v36
	v_fma_f16 v36, v5, s17, -v35
	v_mul_f16_e32 v52, 0xb3a8, v6
	v_fma_f16 v35, v5, s17, v35
	v_add_f16_e32 v43, v43, v53
	v_fma_f16 v53, v7, s17, v52
	v_add_f16_e32 v35, v35, v44
	v_fma_f16 v44, v7, s17, -v52
	v_mul_f16_e32 v52, 0x3b7b, v26
	v_add_f16_e32 v36, v36, v54
	v_fma_f16 v54, v5, s5, -v52
	v_fma_f16 v52, v5, s5, v52
	v_add_f16_e32 v44, v44, v55
	v_mul_f16_e32 v55, 0x3b7b, v6
	v_add_f16_e32 v52, v52, v58
	v_mul_f16_e32 v58, 0x3770, v26
	v_add_f16_e32 v53, v53, v59
	v_add_f16_e32 v54, v54, v60
	v_fma_f16 v59, v7, s5, v55
	v_fma_f16 v55, v7, s5, -v55
	v_fma_f16 v60, v5, s4, -v58
	v_fma_f16 v58, v5, s4, v58
	v_add_f16_e32 v55, v55, v61
	v_mul_f16_e32 v61, 0x3770, v6
	v_add_f16_e32 v58, v58, v62
	v_mul_f16_e32 v62, 0xba95, v26
	v_add_f16_e32 v59, v59, v63
	v_add_f16_e32 v60, v60, v64
	v_fma_f16 v63, v7, s4, v61
	v_fma_f16 v61, v7, s4, -v61
	v_fma_f16 v64, v5, s3, -v62
	v_fma_f16 v62, v5, s3, v62
	v_mul_f16_e32 v26, 0xb94e, v26
	v_add_f16_e32 v61, v61, v65
	v_mul_f16_e32 v65, 0xba95, v6
	v_add_f16_e32 v62, v62, v66
	v_fma_f16 v66, v5, s16, -v26
	v_mul_f16_e32 v6, 0xb94e, v6
	v_fma_f16 v5, v5, s16, v26
	v_add_f16_e32 v4, v5, v4
	v_fma_f16 v5, v7, s16, -v6
	v_add_f16_e32 v63, v63, v67
	v_add_f16_e32 v64, v64, v68
	v_fma_f16 v67, v7, s3, v65
	v_fma_f16 v65, v7, s3, -v65
	v_fma_f16 v68, v7, s16, v6
	v_add_f16_e32 v3, v5, v3
	v_add_f16_e32 v5, v20, v25
	v_sub_f16_e32 v7, v20, v25
	v_sub_f16_e32 v20, v37, v42
	v_mul_f16_e32 v25, 0xbb7b, v20
	v_fma_f16 v26, v5, s5, -v25
	v_add_f16_e32 v6, v37, v42
	v_add_f16_e32 v26, v26, v34
	v_mul_f16_e32 v34, 0xbb7b, v7
	v_fma_f16 v25, v5, s5, v25
	v_add_f16_e32 v25, v25, v27
	v_fma_f16 v27, v6, s5, -v34
	v_add_f16_e32 v27, v27, v33
	v_mul_f16_e32 v33, 0x394e, v20
	v_fma_f16 v37, v6, s5, v34
	v_fma_f16 v34, v5, s16, -v33
	v_add_f16_e32 v34, v34, v36
	v_mul_f16_e32 v36, 0x394e, v7
	v_fma_f16 v33, v5, s16, v33
	v_fma_f16 v42, v6, s16, v36
	v_add_f16_e32 v33, v33, v35
	v_fma_f16 v35, v6, s16, -v36
	v_mul_f16_e32 v36, 0x3770, v20
	v_add_f16_e32 v37, v37, v43
	v_fma_f16 v43, v5, s4, -v36
	v_fma_f16 v36, v5, s4, v36
	v_add_f16_e32 v35, v35, v44
	v_mul_f16_e32 v44, 0x3770, v7
	v_add_f16_e32 v36, v36, v52
	v_mul_f16_e32 v52, 0xbbf1, v20
	v_add_f16_e32 v42, v42, v53
	v_add_f16_e32 v43, v43, v54
	v_fma_f16 v53, v6, s4, v44
	v_fma_f16 v44, v6, s4, -v44
	v_fma_f16 v54, v5, s2, -v52
	v_fma_f16 v52, v5, s2, v52
	v_add_f16_e32 v44, v44, v55
	v_mul_f16_e32 v55, 0xbbf1, v7
	v_add_f16_e32 v52, v52, v58
	v_mul_f16_e32 v58, 0x33a8, v20
	v_add_f16_e32 v53, v53, v59
	v_add_f16_e32 v54, v54, v60
	v_fma_f16 v59, v6, s2, v55
	v_fma_f16 v55, v6, s2, -v55
	v_fma_f16 v60, v5, s17, -v58
	v_fma_f16 v58, v5, s17, v58
	v_mul_f16_e32 v20, 0x3a95, v20
	v_add_f16_e32 v55, v55, v61
	v_mul_f16_e32 v61, 0x33a8, v7
	v_add_f16_e32 v58, v58, v62
	v_fma_f16 v62, v5, s3, -v20
	v_mul_f16_e32 v7, 0x3a95, v7
	v_fma_f16 v5, v5, s3, v20
	v_add_f16_e32 v4, v5, v4
	v_fma_f16 v5, v6, s3, -v7
	v_sub_f16_e32 v20, v38, v41
	v_add_f16_e32 v60, v60, v64
	v_fma_f16 v64, v6, s3, v7
	v_add_f16_e32 v3, v5, v3
	v_add_f16_e32 v5, v21, v24
	v_sub_f16_e32 v7, v21, v24
	v_mul_f16_e32 v21, 0xb94e, v20
	v_fma_f16 v24, v5, s16, -v21
	v_add_f16_e32 v59, v59, v63
	v_fma_f16 v63, v6, s17, v61
	v_fma_f16 v61, v6, s17, -v61
	v_add_f16_e32 v6, v38, v41
	v_add_f16_e32 v24, v24, v26
	v_mul_f16_e32 v26, 0xb94e, v7
	v_fma_f16 v21, v5, s16, v21
	v_fma_f16 v38, v6, s16, v26
	v_add_f16_e32 v21, v21, v25
	v_fma_f16 v25, v6, s16, -v26
	v_mul_f16_e32 v26, 0x3bf1, v20
	v_add_f16_e32 v25, v25, v27
	v_fma_f16 v27, v5, s2, -v26
	v_add_f16_e32 v27, v27, v34
	v_mul_f16_e32 v34, 0x3bf1, v7
	v_fma_f16 v26, v5, s2, v26
	v_add_f16_e32 v26, v26, v33
	v_fma_f16 v33, v6, s2, -v34
	v_add_f16_e32 v35, v33, v35
	v_mul_f16_e32 v33, 0xba95, v20
	v_add_f16_e32 v37, v38, v37
	v_fma_f16 v38, v6, s2, v34
	v_fma_f16 v34, v5, s3, -v33
	v_add_f16_e32 v41, v34, v43
	v_mul_f16_e32 v34, 0xba95, v7
	v_fma_f16 v33, v5, s3, v33
	v_add_f16_e32 v36, v33, v36
	v_fma_f16 v33, v6, s3, -v34
	v_add_f16_e32 v43, v33, v44
	v_mul_f16_e32 v33, 0x33a8, v20
	v_add_f16_e32 v38, v38, v42
	v_fma_f16 v42, v6, s3, v34
	v_fma_f16 v34, v5, s17, -v33
	v_add_f16_e32 v44, v34, v54
	v_mul_f16_e32 v34, 0x33a8, v7
	v_fma_f16 v33, v5, s17, v33
	v_add_f16_e32 v65, v65, v69
	v_add_f16_e32 v52, v33, v52
	v_fma_f16 v33, v6, s17, -v34
	v_add_f16_e32 v61, v61, v65
	v_add_f16_e32 v65, v33, v55
	v_mul_f16_e32 v33, 0x3770, v20
	v_add_f16_e32 v42, v42, v53
	v_fma_f16 v53, v6, s17, v34
	v_fma_f16 v34, v5, s4, -v33
	v_add_f16_e32 v70, v70, v74
	v_add_f16_e32 v60, v34, v60
	v_mul_f16_e32 v34, 0x3770, v7
	v_fma_f16 v33, v5, s4, v33
	v_add_f16_e32 v66, v66, v70
	v_add_f16_e32 v58, v33, v58
	v_fma_f16 v33, v6, s4, -v34
	v_mul_f16_e32 v20, 0xbb7b, v20
	v_add_f16_e32 v62, v62, v66
	v_add_f16_e32 v66, v33, v61
	v_fma_f16 v33, v5, s5, -v20
	v_mul_f16_e32 v7, 0xbb7b, v7
	v_fma_f16 v5, v5, s5, v20
	v_add_f16_e32 v4, v5, v4
	v_fma_f16 v5, v6, s5, -v7
	v_sub_f16_e32 v20, v39, v40
	v_add_f16_e32 v62, v33, v62
	v_fma_f16 v33, v6, s5, v7
	v_add_f16_e32 v3, v5, v3
	v_add_f16_e32 v5, v22, v23
	v_sub_f16_e32 v7, v22, v23
	v_mul_f16_e32 v22, 0xb3a8, v20
	v_add_f16_e32 v71, v71, v73
	v_fma_f16 v23, v5, s17, -v22
	v_add_f16_e32 v72, v72, v75
	v_add_f16_e32 v67, v67, v71
	;; [unrolled: 1-line block ×3, first 2 shown]
	v_fma_f16 v53, v6, s4, v34
	v_add_f16_e32 v6, v39, v40
	v_add_f16_e32 v23, v23, v24
	v_mul_f16_e32 v24, 0xb3a8, v7
	v_fma_f16 v22, v5, s17, v22
	v_add_f16_e32 v68, v68, v72
	v_add_f16_e32 v63, v63, v67
	;; [unrolled: 1-line block ×3, first 2 shown]
	v_fma_f16 v21, v6, s17, -v24
	v_add_f16_e32 v64, v64, v68
	v_add_f16_e32 v63, v53, v63
	;; [unrolled: 1-line block ×3, first 2 shown]
	v_mul_f16_e32 v21, 0x3770, v20
	v_add_f16_e32 v64, v33, v64
	v_fma_f16 v33, v6, s17, v24
	v_fma_f16 v22, v5, s4, -v21
	v_mul_f16_e32 v24, 0x3770, v7
	v_fma_f16 v21, v5, s4, v21
	v_add_f16_e32 v37, v33, v37
	v_add_f16_e32 v33, v21, v26
	v_fma_f16 v21, v6, s4, -v24
	v_add_f16_e32 v54, v21, v35
	v_mul_f16_e32 v21, 0xb94e, v20
	v_fma_f16 v25, v6, s4, v24
	v_fma_f16 v24, v5, s16, -v21
	v_mul_f16_e32 v26, 0xb94e, v7
	v_fma_f16 v21, v5, s16, v21
	v_add_f16_e32 v36, v21, v36
	v_fma_f16 v21, v6, s16, -v26
	v_add_f16_e32 v25, v25, v38
	v_add_f16_e32 v55, v21, v43
	v_mul_f16_e32 v21, 0x3a95, v20
	v_mul_f16_e32 v38, 0x3a95, v7
	v_add_f16_e32 v22, v22, v27
	v_fma_f16 v27, v6, s16, v26
	v_fma_f16 v26, v5, s3, -v21
	v_fma_f16 v35, v6, s3, v38
	v_fma_f16 v21, v5, s3, v21
	v_add_f16_e32 v39, v35, v59
	v_add_f16_e32 v35, v21, v52
	v_fma_f16 v21, v6, s3, -v38
	v_add_f16_e32 v61, v21, v65
	v_mul_f16_e32 v21, 0xbb7b, v20
	v_mul_f16_e32 v40, 0xbb7b, v7
	;; [unrolled: 1-line block ×3, first 2 shown]
	v_add_f16_e32 v24, v24, v41
	v_add_f16_e32 v27, v27, v42
	v_fma_f16 v38, v5, s5, -v21
	v_fma_f16 v41, v6, s5, v40
	v_fma_f16 v21, v5, s5, v21
	v_fma_f16 v42, v5, s2, -v20
	v_mul_f16_e32 v7, 0x3bf1, v7
	v_fma_f16 v5, v5, s2, v20
	v_add_lshl_u32 v52, v1, v2, 2
	v_pack_b32_f16 v1, v56, v57
	v_pack_b32_f16 v2, v23, v37
	v_add_f16_e32 v26, v26, v44
	v_add_f16_e32 v38, v38, v60
	;; [unrolled: 1-line block ×3, first 2 shown]
	v_fma_f16 v43, v6, s2, v7
	v_add_f16_e32 v4, v5, v4
	v_fma_f16 v5, v6, s2, -v7
	ds_write2_b32 v52, v1, v2 offset1:17
	v_pack_b32_f16 v1, v22, v25
	v_pack_b32_f16 v2, v24, v27
	v_fma_f16 v40, v6, s5, -v40
	v_add_f16_e32 v42, v42, v62
	v_add_f16_e32 v43, v43, v64
	;; [unrolled: 1-line block ×3, first 2 shown]
	ds_write2_b32 v52, v1, v2 offset0:34 offset1:51
	v_pack_b32_f16 v1, v26, v39
	v_pack_b32_f16 v2, v38, v41
	v_add_f16_e32 v21, v21, v58
	v_add_f16_e32 v40, v40, v66
	ds_write2_b32 v52, v1, v2 offset0:68 offset1:85
	v_pack_b32_f16 v1, v42, v43
	v_pack_b32_f16 v2, v4, v3
	ds_write2_b32 v52, v1, v2 offset0:102 offset1:119
	v_pack_b32_f16 v1, v21, v40
	v_pack_b32_f16 v2, v35, v61
	;; [unrolled: 3-line block ×3, first 2 shown]
	ds_write2_b32 v52, v1, v2 offset0:170 offset1:187
	v_pack_b32_f16 v1, v34, v53
	v_add_u32_e32 v63, 0x680, v49
	v_add_u32_e32 v64, 0xd80, v49
	;; [unrolled: 1-line block ×3, first 2 shown]
	ds_write_b32 v52, v1 offset:816
	s_waitcnt lgkmcnt(0)
	s_barrier
	ds_read2_b32 v[39:40], v49 offset1:221
	ds_read2_b32 v[37:38], v63 offset0:26 offset1:247
	ds_read2_b32 v[41:42], v64 offset0:20 offset1:241
	;; [unrolled: 1-line block ×3, first 2 shown]
	ds_read_b32 v56, v49 offset:7072
	s_movk_i32 s2, 0x44
	v_cmp_gt_u16_e64 s[2:3], s2, v192
                                        ; implicit-def: $vgpr57
                                        ; implicit-def: $vgpr58
	s_and_saveexec_b64 s[4:5], s[2:3]
	s_cbranch_execz .LBB0_9
; %bb.8:
	v_add_u32_e32 v1, 0x200, v49
	ds_read2_b32 v[35:36], v1 offset0:25 offset1:246
	v_add_u32_e32 v1, 0x900, v49
	ds_read2_b32 v[33:34], v1 offset0:19 offset1:240
	;; [unrolled: 2-line block ×3, first 2 shown]
	ds_read2_b32 v[31:32], v0 offset0:7 offset1:228
	ds_read_b32 v57, v49 offset:7684
	s_waitcnt lgkmcnt(4)
	v_lshrrev_b32_e32 v61, 16, v35
	v_lshrrev_b32_e32 v55, 16, v36
	s_waitcnt lgkmcnt(3)
	v_lshrrev_b32_e32 v54, 16, v33
	v_lshrrev_b32_e32 v53, 16, v34
	;; [unrolled: 3-line block ×4, first 2 shown]
	s_waitcnt lgkmcnt(0)
	v_lshrrev_b32_e32 v58, 16, v57
.LBB0_9:
	s_or_b64 exec, exec, s[4:5]
	v_lshlrev_b32_e32 v0, 5, v192
	s_movk_i32 s4, 0x99
	global_load_dwordx4 v[20:23], v0, s[14:15] offset:816
	global_load_dwordx4 v[24:27], v0, s[14:15] offset:832
	s_movk_i32 s16, 0xffbc
	v_add_co_u32_e32 v0, vcc, s4, v192
	v_addc_co_u32_e64 v1, s[4:5], 0, 0, vcc
	v_add_co_u32_e32 v3, vcc, s16, v192
	v_addc_co_u32_e64 v4, s[4:5], 0, -1, vcc
	v_cndmask_b32_e64 v1, v4, v1, s[2:3]
	v_cndmask_b32_e64 v0, v3, v0, s[2:3]
	v_lshlrev_b64 v[0:1], 5, v[0:1]
	v_mov_b32_e32 v2, s15
	v_add_co_u32_e32 v59, vcc, s14, v0
	v_addc_co_u32_e32 v60, vcc, v2, v1, vcc
	global_load_dwordx4 v[0:3], v[59:60], off offset:816
	global_load_dwordx4 v[4:7], v[59:60], off offset:832
	s_waitcnt lgkmcnt(2)
	v_lshrrev_b32_e32 v67, 16, v41
	v_lshrrev_b32_e32 v60, 16, v37
	;; [unrolled: 1-line block ×4, first 2 shown]
	s_waitcnt lgkmcnt(0)
	v_lshrrev_b32_e32 v71, 16, v56
	v_lshrrev_b32_e32 v68, 16, v42
	;; [unrolled: 1-line block ×4, first 2 shown]
	s_movk_i32 s4, 0x3be1
	s_movk_i32 s5, 0x3aee
	;; [unrolled: 1-line block ×4, first 2 shown]
	v_lshrrev_b32_e32 v65, 16, v39
	s_movk_i32 s16, 0x318f
	s_mov_b32 s17, 0xbb84
	s_mov_b32 s19, 0xbaee
	;; [unrolled: 1-line block ×3, first 2 shown]
	s_waitcnt vmcnt(3)
	v_mul_f16_sdwa v75, v37, v21 dst_sel:DWORD dst_unused:UNUSED_PAD src0_sel:DWORD src1_sel:WORD_1
	v_mul_f16_sdwa v78, v67, v23 dst_sel:DWORD dst_unused:UNUSED_PAD src0_sel:DWORD src1_sel:WORD_1
	v_mul_f16_sdwa v74, v60, v21 dst_sel:DWORD dst_unused:UNUSED_PAD src0_sel:DWORD src1_sel:WORD_1
	v_mul_f16_sdwa v77, v38, v22 dst_sel:DWORD dst_unused:UNUSED_PAD src0_sel:DWORD src1_sel:WORD_1
	v_mul_f16_sdwa v79, v41, v23 dst_sel:DWORD dst_unused:UNUSED_PAD src0_sel:DWORD src1_sel:WORD_1
	v_fma_f16 v60, v60, v21, v75
	v_fma_f16 v41, v41, v23, -v78
	v_mul_f16_sdwa v76, v62, v22 dst_sel:DWORD dst_unused:UNUSED_PAD src0_sel:DWORD src1_sel:WORD_1
	v_fma_f16 v37, v37, v21, -v74
	v_fma_f16 v62, v62, v22, v77
	v_fma_f16 v67, v67, v23, v79
	v_fma_f16 v38, v38, v22, -v76
	v_mul_f16_sdwa v72, v59, v20 dst_sel:DWORD dst_unused:UNUSED_PAD src0_sel:DWORD src1_sel:WORD_1
	s_waitcnt vmcnt(2)
	v_mul_f16_sdwa v86, v71, v27 dst_sel:DWORD dst_unused:UNUSED_PAD src0_sel:DWORD src1_sel:WORD_1
	v_mul_f16_sdwa v73, v40, v20 dst_sel:DWORD dst_unused:UNUSED_PAD src0_sel:DWORD src1_sel:WORD_1
	;; [unrolled: 1-line block ×5, first 2 shown]
	s_waitcnt vmcnt(1)
	v_mul_f16_sdwa v75, v33, v1 dst_sel:DWORD dst_unused:UNUSED_PAD src0_sel:DWORD src1_sel:WORD_1
	v_mul_f16_sdwa v78, v47, v3 dst_sel:DWORD dst_unused:UNUSED_PAD src0_sel:DWORD src1_sel:WORD_1
	v_mul_f16_sdwa v74, v54, v1 dst_sel:DWORD dst_unused:UNUSED_PAD src0_sel:DWORD src1_sel:WORD_1
	v_mul_f16_sdwa v77, v34, v2 dst_sel:DWORD dst_unused:UNUSED_PAD src0_sel:DWORD src1_sel:WORD_1
	v_mul_f16_sdwa v79, v29, v3 dst_sel:DWORD dst_unused:UNUSED_PAD src0_sel:DWORD src1_sel:WORD_1
	v_fma_f16 v54, v54, v1, v75
	v_fma_f16 v75, v29, v3, -v78
	s_waitcnt vmcnt(0)
	v_mul_f16_sdwa v29, v48, v6 dst_sel:DWORD dst_unused:UNUSED_PAD src0_sel:DWORD src1_sel:WORD_1
	v_mul_f16_sdwa v76, v53, v2 dst_sel:DWORD dst_unused:UNUSED_PAD src0_sel:DWORD src1_sel:WORD_1
	v_fma_f16 v53, v53, v2, v77
	v_fma_f16 v77, v32, v6, -v29
	v_mul_f16_sdwa v29, v32, v6 dst_sel:DWORD dst_unused:UNUSED_PAD src0_sel:DWORD src1_sel:WORD_1
	v_fma_f16 v48, v48, v6, v29
	v_mul_f16_sdwa v29, v58, v7 dst_sel:DWORD dst_unused:UNUSED_PAD src0_sel:DWORD src1_sel:WORD_1
	v_mul_f16_sdwa v87, v56, v27 dst_sel:DWORD dst_unused:UNUSED_PAD src0_sel:DWORD src1_sel:WORD_1
	v_fma_f16 v40, v40, v20, -v72
	v_fma_f16 v56, v56, v27, -v86
	v_fma_f16 v78, v57, v7, -v29
	v_mul_f16_sdwa v29, v57, v7 dst_sel:DWORD dst_unused:UNUSED_PAD src0_sel:DWORD src1_sel:WORD_1
	v_mul_f16_sdwa v81, v42, v24 dst_sel:DWORD dst_unused:UNUSED_PAD src0_sel:DWORD src1_sel:WORD_1
	;; [unrolled: 1-line block ×4, first 2 shown]
	v_fma_f16 v59, v59, v20, v73
	v_fma_f16 v42, v42, v24, -v80
	v_fma_f16 v43, v43, v25, -v82
	;; [unrolled: 1-line block ×3, first 2 shown]
	v_mul_f16_sdwa v72, v55, v0 dst_sel:DWORD dst_unused:UNUSED_PAD src0_sel:DWORD src1_sel:WORD_1
	v_mul_f16_sdwa v73, v36, v0 dst_sel:DWORD dst_unused:UNUSED_PAD src0_sel:DWORD src1_sel:WORD_1
	v_mul_f16_sdwa v80, v46, v4 dst_sel:DWORD dst_unused:UNUSED_PAD src0_sel:DWORD src1_sel:WORD_1
	v_mul_f16_sdwa v82, v45, v5 dst_sel:DWORD dst_unused:UNUSED_PAD src0_sel:DWORD src1_sel:WORD_1
	v_fma_f16 v47, v47, v3, v79
	v_fma_f16 v79, v58, v7, v29
	v_sub_f16_e32 v29, v40, v56
	v_fma_f16 v68, v68, v24, v81
	v_mul_f16_sdwa v81, v30, v4 dst_sel:DWORD dst_unused:UNUSED_PAD src0_sel:DWORD src1_sel:WORD_1
	v_fma_f16 v36, v36, v0, -v72
	v_fma_f16 v72, v55, v0, v73
	v_fma_f16 v73, v33, v1, -v74
	v_fma_f16 v34, v34, v2, -v76
	;; [unrolled: 1-line block ×4, first 2 shown]
	v_add_f16_e32 v82, v37, v44
	v_sub_f16_e32 v44, v37, v44
	v_mul_f16_e32 v30, 0x3924, v29
	v_fma_f16 v69, v69, v25, v83
	v_fma_f16 v70, v70, v26, v85
	;; [unrolled: 1-line block ×3, first 2 shown]
	v_mul_f16_sdwa v83, v31, v5 dst_sel:DWORD dst_unused:UNUSED_PAD src0_sel:DWORD src1_sel:WORD_1
	v_add_f16_e32 v84, v38, v43
	v_sub_f16_e32 v43, v38, v43
	v_fma_f16 v30, v44, s4, v30
	v_fma_f16 v45, v45, v5, v83
	v_add_f16_e32 v80, v40, v56
	v_add_f16_e32 v83, v60, v70
	v_sub_f16_e32 v40, v59, v71
	v_sub_f16_e32 v60, v60, v70
	v_fma_f16 v30, v43, s5, v30
	v_sub_f16_e32 v70, v41, v42
	v_fma_f16 v46, v46, v4, v81
	v_add_f16_e32 v81, v59, v71
	v_mul_f16_e32 v31, 0x3924, v40
	v_fma_f16 v32, v70, s14, v30
	v_fma_f16 v30, v80, s15, v39
	v_add_f16_e32 v85, v62, v69
	v_sub_f16_e32 v69, v62, v69
	v_fma_f16 v31, v60, s4, v31
	v_fma_f16 v33, v81, s15, v65
	v_fma_f16 v30, v82, s16, v30
	v_fma_f16 v31, v69, s5, v31
	v_sub_f16_e32 v71, v67, v68
	v_fma_f16 v33, v83, s16, v33
	v_fma_f16 v30, v84, -0.5, v30
	v_add_f16_e32 v86, v41, v42
	v_fma_f16 v31, v71, s14, v31
	v_fma_f16 v33, v85, -0.5, v33
	v_add_f16_e32 v87, v67, v68
	v_fma_f16 v30, v86, s17, v30
	v_fma_f16 v33, v87, s17, v33
	v_add_f16_e32 v30, v31, v30
	v_sub_f16_e32 v55, v33, v32
	v_fma_f16 v33, v31, -2.0, v30
	v_mul_f16_e32 v31, 0xb924, v70
	v_fma_f16 v31, v29, s4, v31
	v_fma_f16 v31, v43, s19, v31
	v_fma_f16 v57, v32, 2.0, v55
	v_mul_f16_e32 v32, 0xb924, v71
	v_fma_f16 v37, v44, s14, v31
	v_fma_f16 v31, v86, s15, v39
	;; [unrolled: 1-line block ×7, first 2 shown]
	v_fma_f16 v31, v84, -0.5, v31
	v_fma_f16 v38, v85, -0.5, v38
	v_fma_f16 v32, v60, s14, v32
	v_fma_f16 v31, v82, s17, v31
	;; [unrolled: 1-line block ×3, first 2 shown]
	v_add_f16_e32 v31, v32, v31
	v_sub_f16_e32 v56, v38, v37
	v_fma_f16 v38, v32, -2.0, v31
	v_fma_f16 v59, v37, 2.0, v56
	v_add_f16_e32 v32, v70, v29
	v_add_f16_e32 v37, v71, v40
	v_mul_f16_e32 v70, 0x3be1, v70
	v_mul_f16_e32 v71, 0x3be1, v71
	v_sub_f16_e32 v58, v32, v44
	v_sub_f16_e32 v32, v37, v60
	v_fma_f16 v44, v44, s18, -v70
	v_fma_f16 v60, v60, s18, -v71
	v_add_f16_e32 v90, v82, v80
	v_add_f16_e32 v91, v83, v81
	v_fma_f16 v43, v43, s5, v44
	v_fma_f16 v44, v69, s5, v60
	;; [unrolled: 1-line block ×4, first 2 shown]
	v_add_f16_e32 v29, v84, v90
	v_add_f16_e32 v44, v85, v91
	v_add_f16_e32 v29, v41, v29
	v_add_f16_e32 v41, v67, v44
	v_add_f16_e32 v29, v42, v29
	v_add_f16_e32 v41, v68, v41
	v_add_f16_e32 v88, v84, v39
	v_add_f16_e32 v29, v29, v39
	v_add_f16_e32 v60, v41, v65
	v_fma_f16 v39, v82, s15, v39
	v_fma_f16 v41, v83, s15, v65
	;; [unrolled: 1-line block ×4, first 2 shown]
	v_fma_f16 v39, v84, -0.5, v39
	v_fma_f16 v41, v85, -0.5, v41
	v_fma_f16 v39, v80, s17, v39
	v_fma_f16 v42, v81, s17, v41
	v_add_f16_e32 v89, v85, v65
	v_add_f16_e32 v41, v40, v39
	v_sub_f16_e32 v65, v42, v43
	v_add_f16_e32 v39, v36, v78
	v_sub_f16_e32 v36, v36, v78
	v_fma_f16 v67, v43, 2.0, v65
	v_add_f16_e32 v80, v73, v77
	v_sub_f16_e32 v77, v73, v77
	v_mul_f16_e32 v43, 0x3924, v36
	v_add_f16_e32 v82, v34, v74
	v_sub_f16_e32 v34, v34, v74
	v_fma_f16 v43, v77, s4, v43
	v_fma_f16 v42, v40, -2.0, v41
	v_add_f16_e32 v40, v72, v79
	v_sub_f16_e32 v72, v72, v79
	v_fma_f16 v43, v34, s5, v43
	v_sub_f16_e32 v84, v75, v76
	v_add_f16_e32 v83, v53, v45
	v_sub_f16_e32 v78, v54, v48
	v_sub_f16_e32 v79, v53, v45
	v_mul_f16_e32 v44, 0x3924, v72
	v_fma_f16 v45, v84, s14, v43
	v_fma_f16 v43, v39, s15, v35
	;; [unrolled: 1-line block ×4, first 2 shown]
	v_add_f16_e32 v92, v86, v90
	v_fma_f16 v44, v79, s5, v44
	v_sub_f16_e32 v85, v47, v46
	v_fma_f16 v43, v82, -0.5, v43
	v_add_f16_e32 v86, v75, v76
	v_add_f16_e32 v81, v54, v48
	v_fma_f16 v44, v85, s14, v44
	v_fma_f16 v48, v40, s15, v61
	v_fma_f16 v43, v86, s17, v43
	v_fma_f16 v48, v81, s16, v48
	v_add_f16_e32 v43, v44, v43
	v_add_f16_e32 v93, v87, v91
	v_fma_f16 v48, v83, -0.5, v48
	v_add_f16_e32 v87, v47, v46
	v_fma_f16 v53, v44, -2.0, v43
	v_mul_f16_e32 v44, 0xb924, v84
	v_fma_f16 v48, v87, s17, v48
	v_fma_f16 v44, v36, s4, v44
	v_sub_f16_e32 v68, v48, v45
	v_fma_f16 v44, v34, s19, v44
	v_fma_f16 v54, v45, 2.0, v68
	v_mul_f16_e32 v45, 0xb924, v85
	v_fma_f16 v48, v77, s14, v44
	v_fma_f16 v44, v86, s15, v35
	;; [unrolled: 1-line block ×7, first 2 shown]
	v_fma_f16 v44, v82, -0.5, v44
	v_fma_f16 v69, v83, -0.5, v69
	v_fma_f16 v45, v78, s14, v45
	v_fma_f16 v44, v80, s17, v44
	;; [unrolled: 1-line block ×3, first 2 shown]
	v_add_f16_e32 v44, v45, v44
	v_sub_f16_e32 v69, v69, v48
	v_fma_f16 v71, v45, -2.0, v44
	v_fma_f16 v70, v48, 2.0, v69
	v_add_f16_e32 v45, v84, v36
	v_add_f16_e32 v48, v85, v72
	v_mul_f16_e32 v84, 0x3be1, v84
	v_mul_f16_e32 v85, 0x3be1, v85
	v_sub_f16_e32 v73, v45, v77
	v_sub_f16_e32 v45, v48, v78
	v_fma_f16 v77, v77, s18, -v84
	v_fma_f16 v78, v78, s18, -v85
	v_add_f16_e32 v90, v80, v39
	v_add_f16_e32 v91, v81, v40
	v_fma_f16 v34, v34, s5, v77
	v_fma_f16 v77, v79, s5, v78
	;; [unrolled: 1-line block ×4, first 2 shown]
	v_add_f16_e32 v34, v82, v90
	v_add_f16_e32 v72, v83, v91
	;; [unrolled: 1-line block ×4, first 2 shown]
	v_fma_f16 v88, v92, -0.5, v88
	v_add_f16_e32 v34, v76, v34
	v_add_f16_e32 v46, v46, v47
	v_mul_f16_e32 v37, 0x3aee, v32
	v_fma_f16 v32, v32, s5, v88
	v_add_f16_e32 v88, v35, v82
	v_add_f16_e32 v34, v35, v34
	;; [unrolled: 1-line block ×3, first 2 shown]
	v_fma_f16 v35, v80, s15, v35
	v_fma_f16 v46, v81, s15, v61
	;; [unrolled: 1-line block ×4, first 2 shown]
	v_fma_f16 v35, v82, -0.5, v35
	v_fma_f16 v46, v83, -0.5, v46
	v_fma_f16 v35, v39, s17, v35
	v_fma_f16 v39, v40, s17, v46
	v_fma_f16 v89, v93, -0.5, v89
	v_sub_f16_e32 v75, v39, v36
	v_mul_f16_e32 v62, 0x3aee, v58
	v_fma_f16 v58, v58, s19, v89
	v_add_f16_e32 v46, v77, v35
	v_fma_f16 v76, v36, 2.0, v75
	v_pack_b32_f16 v35, v29, v60
	v_pack_b32_f16 v36, v30, v55
	v_add_f16_e32 v89, v61, v83
	v_add_f16_e32 v92, v86, v90
	;; [unrolled: 1-line block ×3, first 2 shown]
	ds_write2_b32 v49, v35, v36 offset1:221
	v_pack_b32_f16 v35, v31, v56
	v_pack_b32_f16 v36, v32, v58
	v_fma_f16 v37, v37, -2.0, v32
	v_fma_f16 v62, v62, 2.0, v58
	v_fma_f16 v88, v92, -0.5, v88
	v_fma_f16 v89, v93, -0.5, v89
	ds_write2_b32 v63, v35, v36 offset0:26 offset1:247
	v_pack_b32_f16 v35, v41, v65
	v_pack_b32_f16 v36, v42, v67
	v_mul_f16_e32 v74, 0x3aee, v73
	v_mul_f16_e32 v48, 0x3aee, v45
	v_fma_f16 v45, v45, s5, v88
	v_fma_f16 v73, v73, s19, v89
	ds_write2_b32 v64, v35, v36 offset0:20 offset1:241
	v_pack_b32_f16 v35, v37, v62
	v_pack_b32_f16 v36, v38, v59
	v_fma_f16 v48, v48, -2.0, v45
	v_fma_f16 v74, v74, 2.0, v73
	v_fma_f16 v47, v77, -2.0, v46
	ds_write2_b32 v66, v35, v36 offset0:14 offset1:235
	v_pack_b32_f16 v35, v33, v57
	ds_write_b32 v49, v35 offset:7072
	s_and_saveexec_b64 s[4:5], s[2:3]
	s_cbranch_execz .LBB0_11
; %bb.10:
	s_mov_b32 s14, 0x5040100
	v_perm_b32 v35, v72, v34, s14
	v_perm_b32 v36, v68, v43, s14
	v_add_u32_e32 v39, 0x200, v49
	ds_write2_b32 v39, v35, v36 offset0:25 offset1:246
	v_perm_b32 v35, v69, v44, s14
	v_perm_b32 v36, v73, v45, s14
	v_add_u32_e32 v39, 0x900, v49
	ds_write2_b32 v39, v35, v36 offset0:19 offset1:240
	;; [unrolled: 4-line block ×4, first 2 shown]
	v_perm_b32 v35, v54, v53, s14
	ds_write_b32 v49, v35 offset:7684
.LBB0_11:
	s_or_b64 exec, exec, s[4:5]
	s_waitcnt lgkmcnt(0)
	s_barrier
	s_and_saveexec_b64 s[4:5], s[0:1]
	s_cbranch_execz .LBB0_13
; %bb.12:
	v_mov_b32_e32 v35, s7
	v_add_co_u32_e32 v61, vcc, s6, v49
	v_addc_co_u32_e32 v63, vcc, 0, v35, vcc
	v_add_co_u32_e32 v35, vcc, 0x1f14, v61
	v_addc_co_u32_e32 v36, vcc, 0, v63, vcc
	v_add_co_u32_e32 v39, vcc, 0x1000, v61
	v_addc_co_u32_e32 v40, vcc, 0, v63, vcc
	global_load_dword v64, v[39:40], off offset:3860
	global_load_dword v66, v[35:36], off offset:468
	;; [unrolled: 1-line block ×9, first 2 shown]
	s_movk_i32 s14, 0x2000
	v_add_co_u32_e32 v35, vcc, s14, v61
	v_addc_co_u32_e32 v36, vcc, 0, v63, vcc
	s_movk_i32 s14, 0x3000
	global_load_dword v88, v[35:36], off offset:3976
	v_add_co_u32_e32 v35, vcc, s14, v61
	v_addc_co_u32_e32 v36, vcc, 0, v63, vcc
	global_load_dword v61, v[35:36], off offset:348
	ds_read_b32 v39, v49
	global_load_dword v90, v[35:36], off offset:816
	global_load_dword v91, v[35:36], off offset:1284
	;; [unrolled: 1-line block ×6, first 2 shown]
	v_add_u32_e32 v86, 0x400, v49
	v_add_u32_e32 v87, 0x800, v49
	s_waitcnt lgkmcnt(0)
	v_lshrrev_b32_e32 v40, 16, v39
	v_add_u32_e32 v89, 0xc00, v49
	s_waitcnt vmcnt(16)
	v_mul_f16_sdwa v63, v40, v64 dst_sel:DWORD dst_unused:UNUSED_PAD src0_sel:DWORD src1_sel:WORD_1
	v_mul_f16_sdwa v77, v39, v64 dst_sel:DWORD dst_unused:UNUSED_PAD src0_sel:DWORD src1_sel:WORD_1
	v_fma_f16 v39, v39, v64, -v63
	v_fma_f16 v40, v40, v64, v77
	v_pack_b32_f16 v39, v39, v40
	ds_write_b32 v49, v39
	ds_read2_b32 v[39:40], v49 offset0:117 offset1:234
	ds_read2_b32 v[35:36], v86 offset0:95 offset1:212
	;; [unrolled: 1-line block ×4, first 2 shown]
	s_waitcnt lgkmcnt(2)
	v_lshrrev_b32_e32 v100, 16, v35
	v_lshrrev_b32_e32 v96, 16, v39
	s_waitcnt vmcnt(15)
	v_mul_f16_sdwa v97, v39, v66 dst_sel:DWORD dst_unused:UNUSED_PAD src0_sel:DWORD src1_sel:WORD_1
	v_lshrrev_b32_e32 v98, 16, v40
	s_waitcnt vmcnt(14)
	v_mul_f16_sdwa v99, v40, v79 dst_sel:DWORD dst_unused:UNUSED_PAD src0_sel:DWORD src1_sel:WORD_1
	s_waitcnt vmcnt(13)
	v_mul_f16_sdwa v101, v35, v80 dst_sel:DWORD dst_unused:UNUSED_PAD src0_sel:DWORD src1_sel:WORD_1
	v_lshrrev_b32_e32 v102, 16, v36
	s_waitcnt vmcnt(12)
	v_mul_f16_sdwa v103, v36, v81 dst_sel:DWORD dst_unused:UNUSED_PAD src0_sel:DWORD src1_sel:WORD_1
	s_waitcnt lgkmcnt(1)
	v_lshrrev_b32_e32 v104, 16, v63
	s_waitcnt vmcnt(11)
	v_mul_f16_sdwa v105, v63, v82 dst_sel:DWORD dst_unused:UNUSED_PAD src0_sel:DWORD src1_sel:WORD_1
	v_lshrrev_b32_e32 v106, 16, v64
	v_mul_f16_sdwa v109, v96, v66 dst_sel:DWORD dst_unused:UNUSED_PAD src0_sel:DWORD src1_sel:WORD_1
	v_fma_f16 v96, v96, v66, v97
	v_mul_f16_sdwa v97, v98, v79 dst_sel:DWORD dst_unused:UNUSED_PAD src0_sel:DWORD src1_sel:WORD_1
	v_fma_f16 v98, v98, v79, v99
	;; [unrolled: 2-line block ×3, first 2 shown]
	v_mul_f16_sdwa v101, v102, v81 dst_sel:DWORD dst_unused:UNUSED_PAD src0_sel:DWORD src1_sel:WORD_1
	s_waitcnt vmcnt(10)
	v_mul_f16_sdwa v107, v64, v83 dst_sel:DWORD dst_unused:UNUSED_PAD src0_sel:DWORD src1_sel:WORD_1
	v_fma_f16 v102, v102, v81, v103
	v_mul_f16_sdwa v103, v104, v82 dst_sel:DWORD dst_unused:UNUSED_PAD src0_sel:DWORD src1_sel:WORD_1
	v_fma_f16 v104, v104, v82, v105
	v_mul_f16_sdwa v105, v106, v83 dst_sel:DWORD dst_unused:UNUSED_PAD src0_sel:DWORD src1_sel:WORD_1
	v_fma_f16 v39, v39, v66, -v109
	v_fma_f16 v40, v40, v79, -v97
	;; [unrolled: 1-line block ×3, first 2 shown]
	s_waitcnt lgkmcnt(0)
	v_lshrrev_b32_e32 v108, 16, v77
	v_fma_f16 v106, v106, v83, v107
	v_fma_f16 v35, v35, v80, -v99
	v_fma_f16 v63, v63, v82, -v103
	;; [unrolled: 1-line block ×3, first 2 shown]
	v_pack_b32_f16 v39, v39, v96
	v_pack_b32_f16 v40, v40, v98
	v_pack_b32_f16 v36, v36, v102
	s_waitcnt vmcnt(9)
	v_mul_f16_sdwa v107, v108, v84 dst_sel:DWORD dst_unused:UNUSED_PAD src0_sel:DWORD src1_sel:WORD_1
	v_pack_b32_f16 v35, v35, v100
	v_pack_b32_f16 v63, v63, v104
	;; [unrolled: 1-line block ×3, first 2 shown]
	ds_write2_b32 v49, v39, v40 offset0:117 offset1:234
	ds_write2_b32 v86, v35, v36 offset0:95 offset1:212
	;; [unrolled: 1-line block ×3, first 2 shown]
	v_mul_f16_sdwa v36, v77, v84 dst_sel:DWORD dst_unused:UNUSED_PAD src0_sel:DWORD src1_sel:WORD_1
	v_fma_f16 v35, v77, v84, -v107
	v_fma_f16 v36, v108, v84, v36
	v_lshrrev_b32_e32 v40, 16, v78
	v_pack_b32_f16 v39, v35, v36
	s_waitcnt vmcnt(8)
	v_mul_f16_sdwa v35, v40, v85 dst_sel:DWORD dst_unused:UNUSED_PAD src0_sel:DWORD src1_sel:WORD_1
	v_add_u32_e32 v64, 0x1000, v49
	v_fma_f16 v63, v78, v85, -v35
	ds_read2_b32 v[35:36], v64 offset0:29 offset1:146
	v_mul_f16_sdwa v66, v78, v85 dst_sel:DWORD dst_unused:UNUSED_PAD src0_sel:DWORD src1_sel:WORD_1
	v_fma_f16 v40, v40, v85, v66
	v_pack_b32_f16 v40, v63, v40
	ds_write2_b32 v89, v39, v40 offset0:51 offset1:168
	s_waitcnt lgkmcnt(1)
	v_lshrrev_b32_e32 v39, 16, v35
	s_waitcnt vmcnt(7)
	v_mul_f16_sdwa v40, v39, v88 dst_sel:DWORD dst_unused:UNUSED_PAD src0_sel:DWORD src1_sel:WORD_1
	v_fma_f16 v40, v35, v88, -v40
	v_mul_f16_sdwa v35, v35, v88 dst_sel:DWORD dst_unused:UNUSED_PAD src0_sel:DWORD src1_sel:WORD_1
	v_lshrrev_b32_e32 v63, 16, v36
	v_fma_f16 v35, v39, v88, v35
	s_waitcnt vmcnt(6)
	v_mul_f16_sdwa v39, v63, v61 dst_sel:DWORD dst_unused:UNUSED_PAD src0_sel:DWORD src1_sel:WORD_1
	v_add_u32_e32 v77, 0x1400, v49
	v_pack_b32_f16 v35, v40, v35
	v_fma_f16 v66, v36, v61, -v39
	ds_read2_b32 v[39:40], v77 offset0:7 offset1:124
	v_mul_f16_sdwa v36, v36, v61 dst_sel:DWORD dst_unused:UNUSED_PAD src0_sel:DWORD src1_sel:WORD_1
	v_fma_f16 v36, v63, v61, v36
	v_pack_b32_f16 v36, v66, v36
	ds_write2_b32 v64, v35, v36 offset0:29 offset1:146
	s_waitcnt lgkmcnt(1)
	v_lshrrev_b32_e32 v35, 16, v39
	s_waitcnt vmcnt(5)
	v_mul_f16_sdwa v36, v35, v90 dst_sel:DWORD dst_unused:UNUSED_PAD src0_sel:DWORD src1_sel:WORD_1
	v_fma_f16 v36, v39, v90, -v36
	v_mul_f16_sdwa v39, v39, v90 dst_sel:DWORD dst_unused:UNUSED_PAD src0_sel:DWORD src1_sel:WORD_1
	v_fma_f16 v35, v35, v90, v39
	v_lshrrev_b32_e32 v61, 16, v40
	v_pack_b32_f16 v39, v36, v35
	s_waitcnt vmcnt(4)
	v_mul_f16_sdwa v35, v61, v91 dst_sel:DWORD dst_unused:UNUSED_PAD src0_sel:DWORD src1_sel:WORD_1
	v_add_u32_e32 v64, 0x1600, v49
	v_fma_f16 v63, v40, v91, -v35
	ds_read2_b32 v[35:36], v64 offset0:113 offset1:230
	v_mul_f16_sdwa v40, v40, v91 dst_sel:DWORD dst_unused:UNUSED_PAD src0_sel:DWORD src1_sel:WORD_1
	v_fma_f16 v40, v61, v91, v40
	v_pack_b32_f16 v40, v63, v40
	ds_write2_b32 v77, v39, v40 offset0:7 offset1:124
	s_waitcnt lgkmcnt(1)
	v_lshrrev_b32_e32 v39, 16, v35
	s_waitcnt vmcnt(3)
	v_mul_f16_sdwa v40, v39, v92 dst_sel:DWORD dst_unused:UNUSED_PAD src0_sel:DWORD src1_sel:WORD_1
	v_fma_f16 v40, v35, v92, -v40
	v_mul_f16_sdwa v35, v35, v92 dst_sel:DWORD dst_unused:UNUSED_PAD src0_sel:DWORD src1_sel:WORD_1
	v_lshrrev_b32_e32 v61, 16, v36
	v_fma_f16 v35, v39, v92, v35
	s_waitcnt vmcnt(2)
	v_mul_f16_sdwa v39, v61, v93 dst_sel:DWORD dst_unused:UNUSED_PAD src0_sel:DWORD src1_sel:WORD_1
	v_add_u32_e32 v66, 0x1a00, v49
	v_pack_b32_f16 v35, v40, v35
	v_fma_f16 v63, v36, v93, -v39
	ds_read2_b32 v[39:40], v66 offset0:91 offset1:208
	v_mul_f16_sdwa v36, v36, v93 dst_sel:DWORD dst_unused:UNUSED_PAD src0_sel:DWORD src1_sel:WORD_1
	v_fma_f16 v36, v61, v93, v36
	v_pack_b32_f16 v36, v63, v36
	ds_write2_b32 v64, v35, v36 offset0:113 offset1:230
	s_waitcnt lgkmcnt(1)
	v_lshrrev_b32_e32 v35, 16, v39
	s_waitcnt vmcnt(1)
	v_mul_f16_sdwa v36, v35, v94 dst_sel:DWORD dst_unused:UNUSED_PAD src0_sel:DWORD src1_sel:WORD_1
	v_fma_f16 v36, v39, v94, -v36
	v_mul_f16_sdwa v39, v39, v94 dst_sel:DWORD dst_unused:UNUSED_PAD src0_sel:DWORD src1_sel:WORD_1
	v_fma_f16 v35, v35, v94, v39
	v_pack_b32_f16 v35, v36, v35
	v_lshrrev_b32_e32 v36, 16, v40
	s_waitcnt vmcnt(0)
	v_mul_f16_sdwa v39, v36, v95 dst_sel:DWORD dst_unused:UNUSED_PAD src0_sel:DWORD src1_sel:WORD_1
	v_fma_f16 v39, v40, v95, -v39
	v_mul_f16_sdwa v40, v40, v95 dst_sel:DWORD dst_unused:UNUSED_PAD src0_sel:DWORD src1_sel:WORD_1
	v_fma_f16 v36, v36, v95, v40
	v_pack_b32_f16 v36, v39, v36
	ds_write2_b32 v66, v35, v36 offset0:91 offset1:208
.LBB0_13:
	s_or_b64 exec, exec, s[4:5]
	s_waitcnt lgkmcnt(0)
	s_barrier
	s_and_saveexec_b64 s[4:5], s[0:1]
	s_cbranch_execz .LBB0_15
; %bb.14:
	v_add_u32_e32 v33, 0x600, v49
	v_add_u32_e32 v35, 0x1200, v49
	ds_read2_b32 v[41:42], v33 offset0:84 offset1:201
	v_add_u32_e32 v33, 0xa00, v49
	ds_read2_b32 v[43:44], v35 offset0:18 offset1:135
	v_add_u32_e32 v35, 0x1400, v49
	v_add_u32_e32 v31, 0x200, v49
	ds_read2_b32 v[37:38], v33 offset0:62 offset1:179
	v_add_u32_e32 v33, 0xe00, v49
	ds_read2_b32 v[45:46], v35 offset0:124 offset1:241
	v_add_u32_e32 v35, 0x1800, v49
	ds_read2_b32 v[29:30], v49 offset1:117
	ds_read2_b32 v[31:32], v31 offset0:106 offset1:223
	ds_read2_b32 v[33:34], v33 offset0:40 offset1:157
	;; [unrolled: 1-line block ×3, first 2 shown]
	ds_read_b32 v71, v49 offset:7488
	s_waitcnt lgkmcnt(4)
	v_lshrrev_b32_e32 v60, 16, v29
	v_lshrrev_b32_e32 v55, 16, v30
	s_waitcnt lgkmcnt(3)
	v_lshrrev_b32_e32 v56, 16, v31
	v_lshrrev_b32_e32 v58, 16, v32
	;; [unrolled: 1-line block ×6, first 2 shown]
	s_waitcnt lgkmcnt(2)
	v_lshrrev_b32_e32 v57, 16, v33
	v_lshrrev_b32_e32 v72, 16, v34
	;; [unrolled: 1-line block ×6, first 2 shown]
	s_waitcnt lgkmcnt(1)
	v_lshrrev_b32_e32 v76, 16, v47
	v_lshrrev_b32_e32 v74, 16, v48
	s_waitcnt lgkmcnt(0)
	v_lshrrev_b32_e32 v70, 16, v71
.LBB0_15:
	s_or_b64 exec, exec, s[4:5]
	v_sub_f16_e32 v149, v55, v70
	v_add_f16_e32 v96, v71, v30
	v_add_f16_e32 v101, v70, v55
	s_movk_i32 s14, 0x3b76
	v_mul_f16_e32 v77, 0xb5c8, v149
	v_sub_f16_e32 v158, v56, v74
	v_sub_f16_e32 v155, v30, v71
	s_mov_b32 s4, 0xb5c8
	v_mul_f16_e32 v78, 0x3b76, v101
	v_fma_f16 v35, v96, s14, -v77
	s_movk_i32 s15, 0x39e9
	v_add_f16_e32 v106, v48, v31
	v_add_f16_e32 v112, v74, v56
	v_mul_f16_e32 v79, 0xb964, v158
	v_add_f16_e32 v35, v29, v35
	v_fma_f16 v36, v155, s4, v78
	s_mov_b32 s5, 0xb964
	v_mul_f16_e32 v80, 0xb964, v149
	v_sub_f16_e32 v162, v31, v48
	v_mul_f16_e32 v81, 0x39e9, v112
	v_fma_f16 v83, v106, s15, -v79
	v_add_f16_e32 v36, v60, v36
	v_mul_f16_e32 v82, 0x39e9, v101
	v_fma_f16 v39, v96, s15, -v80
	s_movk_i32 s17, 0x2de8
	v_add_f16_e32 v35, v83, v35
	v_fma_f16 v83, v162, s5, v81
	v_mul_f16_e32 v84, 0xbbf7, v158
	v_add_f16_e32 v39, v29, v39
	v_fma_f16 v40, v155, s5, v82
	s_movk_i32 s16, 0x3722
	v_mul_f16_e32 v86, 0xbb29, v149
	s_mov_b32 s23, 0xbbf7
	v_add_f16_e32 v36, v83, v36
	v_mul_f16_e32 v87, 0x2de8, v112
	v_fma_f16 v83, v106, s17, -v84
	v_add_f16_e32 v40, v60, v40
	s_mov_b32 s22, 0xbb29
	v_mul_f16_e32 v89, 0x3722, v101
	v_fma_f16 v61, v96, s16, -v86
	v_add_f16_e32 v39, v83, v39
	v_fma_f16 v83, v162, s23, v87
	s_mov_b32 s18, 0xb8d2
	v_mul_f16_e32 v92, 0xba62, v158
	v_add_f16_e32 v61, v29, v61
	v_fma_f16 v63, v155, s22, v89
	v_mul_f16_e32 v95, 0xbbf7, v149
	v_add_f16_e32 v40, v83, v40
	s_mov_b32 s5, 0xba62
	v_mul_f16_e32 v97, 0xb8d2, v112
	v_fma_f16 v83, v106, s18, -v92
	v_add_f16_e32 v63, v60, v63
	v_mul_f16_e32 v100, 0x2de8, v101
	v_fma_f16 v64, v96, s17, -v95
	v_add_f16_e32 v61, v83, v61
	v_fma_f16 v83, v162, s5, v97
	s_mov_b32 s19, 0xbbdd
	v_mul_f16_e32 v105, 0xb1e1, v158
	v_add_f16_e32 v64, v29, v64
	v_fma_f16 v66, v155, s23, v100
	v_add_f16_e32 v63, v83, v63
	s_mov_b32 s24, 0xb1e1
	v_mul_f16_e32 v110, 0xbbdd, v112
	v_fma_f16 v83, v106, s19, -v105
	v_add_f16_e32 v66, v60, v66
	v_add_f16_e32 v64, v83, v64
	v_fma_f16 v83, v162, s24, v110
	v_sub_f16_e32 v163, v58, v76
	v_add_f16_e32 v66, v83, v66
	v_add_f16_e32 v117, v47, v32
	;; [unrolled: 1-line block ×3, first 2 shown]
	v_mul_f16_e32 v83, 0xbb29, v163
	v_sub_f16_e32 v164, v32, v47
	v_mul_f16_e32 v85, 0x3722, v122
	v_fma_f16 v88, v117, s16, -v83
	v_add_f16_e32 v35, v88, v35
	v_fma_f16 v88, v164, s22, v85
	v_mul_f16_e32 v90, 0xba62, v163
	v_add_f16_e32 v36, v88, v36
	v_mul_f16_e32 v93, 0xb8d2, v122
	v_fma_f16 v88, v117, s18, -v90
	v_add_f16_e32 v39, v88, v39
	v_fma_f16 v88, v164, s5, v93
	v_mul_f16_e32 v102, 0x31e1, v163
	v_add_f16_e32 v40, v88, v40
	s_movk_i32 s20, 0x31e1
	v_mul_f16_e32 v107, 0xbbdd, v122
	v_fma_f16 v88, v117, s19, -v102
	v_add_f16_e32 v61, v88, v61
	v_fma_f16 v88, v164, s20, v107
	s_mov_b32 s20, 0xb461
	v_mul_f16_e32 v115, 0x3bb2, v163
	v_add_f16_e32 v63, v88, v63
	s_movk_i32 s25, 0x3bb2
	v_mul_f16_e32 v120, 0xb461, v122
	v_fma_f16 v88, v117, s20, -v115
	v_add_f16_e32 v64, v88, v64
	v_fma_f16 v88, v164, s25, v120
	v_sub_f16_e32 v165, v65, v75
	v_add_f16_e32 v66, v88, v66
	v_add_f16_e32 v127, v46, v41
	;; [unrolled: 1-line block ×3, first 2 shown]
	v_mul_f16_e32 v88, 0xbbf7, v165
	v_sub_f16_e32 v166, v41, v46
	v_mul_f16_e32 v91, 0x2de8, v133
	v_fma_f16 v94, v127, s17, -v88
	v_add_f16_e32 v35, v94, v35
	v_fma_f16 v94, v166, s23, v91
	v_mul_f16_e32 v98, 0xb1e1, v165
	v_add_f16_e32 v36, v94, v36
	v_mul_f16_e32 v103, 0xbbdd, v133
	v_fma_f16 v94, v127, s19, -v98
	v_add_f16_e32 v39, v94, v39
	v_fma_f16 v94, v166, s24, v103
	v_mul_f16_e32 v111, 0x3bb2, v165
	v_add_f16_e32 v40, v94, v40
	;; [unrolled: 6-line block ×3, first 2 shown]
	s_movk_i32 s26, 0x35c8
	v_mul_f16_e32 v130, 0x3b76, v133
	v_fma_f16 v94, v127, s14, -v125
	v_add_f16_e32 v64, v94, v64
	v_fma_f16 v94, v166, s26, v130
	v_sub_f16_e32 v167, v67, v73
	v_add_f16_e32 v66, v94, v66
	v_add_f16_e32 v137, v45, v42
	;; [unrolled: 1-line block ×3, first 2 shown]
	v_mul_f16_e32 v94, 0xbbb2, v167
	v_sub_f16_e32 v171, v42, v45
	s_mov_b32 s21, 0xbbb2
	v_mul_f16_e32 v99, 0xb461, v143
	v_fma_f16 v104, v137, s20, -v94
	v_add_f16_e32 v35, v104, v35
	v_fma_f16 v104, v171, s21, v99
	s_mov_b32 s21, 0xbacd
	v_mul_f16_e32 v108, 0x3836, v167
	v_add_f16_e32 v36, v104, v36
	s_movk_i32 s27, 0x3836
	v_mul_f16_e32 v114, 0xbacd, v143
	v_fma_f16 v104, v137, s21, -v108
	v_add_f16_e32 v39, v104, v39
	v_fma_f16 v104, v171, s27, v114
	v_mul_f16_e32 v121, 0x3964, v167
	v_add_f16_e32 v40, v104, v40
	s_movk_i32 s27, 0x3964
	v_mul_f16_e32 v128, 0x39e9, v143
	v_fma_f16 v104, v137, s15, -v121
	v_add_f16_e32 v61, v104, v61
	v_fma_f16 v104, v171, s27, v128
	v_mul_f16_e32 v134, 0xbb29, v167
	v_add_f16_e32 v63, v104, v63
	v_mul_f16_e32 v140, 0x3722, v143
	v_fma_f16 v104, v137, s16, -v134
	v_add_f16_e32 v64, v104, v64
	v_fma_f16 v104, v171, s22, v140
	v_sub_f16_e32 v172, v62, v69
	v_add_f16_e32 v66, v104, v66
	v_add_f16_e32 v146, v44, v37
	;; [unrolled: 1-line block ×3, first 2 shown]
	v_mul_f16_e32 v104, 0xba62, v172
	v_sub_f16_e32 v169, v37, v44
	v_mul_f16_e32 v109, 0xb8d2, v150
	v_fma_f16 v113, v146, s18, -v104
	v_add_f16_e32 v35, v113, v35
	v_fma_f16 v113, v169, s5, v109
	v_mul_f16_e32 v118, 0x3bb2, v172
	v_add_f16_e32 v36, v113, v36
	v_mul_f16_e32 v123, 0xb461, v150
	v_fma_f16 v113, v146, s20, -v118
	v_add_f16_e32 v39, v113, v39
	v_fma_f16 v113, v169, s25, v123
	v_mul_f16_e32 v131, 0xb5c8, v172
	v_add_f16_e32 v40, v113, v40
	v_mul_f16_e32 v135, 0x3b76, v150
	v_fma_f16 v113, v146, s14, -v131
	v_add_f16_e32 v61, v113, v61
	v_fma_f16 v113, v169, s4, v135
	v_mul_f16_e32 v144, 0xb836, v172
	v_add_f16_e32 v63, v113, v63
	s_mov_b32 s4, 0xb836
	v_mul_f16_e32 v148, 0xbacd, v150
	v_fma_f16 v113, v146, s21, -v144
	v_add_f16_e32 v64, v113, v64
	v_fma_f16 v113, v169, s4, v148
	v_sub_f16_e32 v173, v59, v68
	v_add_f16_e32 v66, v113, v66
	v_add_f16_e32 v153, v43, v38
	;; [unrolled: 1-line block ×3, first 2 shown]
	v_mul_f16_e32 v113, 0xb836, v173
	v_sub_f16_e32 v168, v38, v43
	v_mul_f16_e32 v119, 0xbacd, v156
	v_fma_f16 v124, v153, s21, -v113
	v_add_f16_e32 v35, v124, v35
	v_fma_f16 v124, v168, s4, v119
	v_mul_f16_e32 v126, 0x3b29, v173
	v_add_f16_e32 v136, v124, v36
	s_movk_i32 s5, 0x3b29
	v_mul_f16_e32 v132, 0x3722, v156
	v_fma_f16 v36, v153, s16, -v126
	v_add_f16_e32 v39, v36, v39
	v_fma_f16 v36, v168, s5, v132
	v_mul_f16_e32 v139, 0xbbf7, v173
	v_add_f16_e32 v40, v36, v40
	v_mul_f16_e32 v145, 0x2de8, v156
	v_fma_f16 v36, v153, s17, -v139
	v_add_f16_e32 v138, v36, v61
	v_fma_f16 v36, v168, s23, v145
	v_mul_f16_e32 v151, 0x3a62, v173
	v_add_f16_e32 v141, v36, v63
	s_movk_i32 s5, 0x3a62
	v_mul_f16_e32 v154, 0xb8d2, v156
	v_fma_f16 v36, v153, s18, -v151
	v_sub_f16_e32 v174, v57, v72
	v_add_f16_e32 v175, v36, v64
	v_fma_f16 v36, v168, s5, v154
	v_add_f16_e32 v159, v34, v33
	v_add_f16_e32 v161, v72, v57
	v_mul_f16_e32 v124, 0xb1e1, v174
	v_add_f16_e32 v66, v36, v66
	v_sub_f16_e32 v170, v33, v34
	v_mul_f16_e32 v129, 0xbbdd, v161
	v_fma_f16 v36, v159, s19, -v124
	v_add_f16_e32 v36, v36, v35
	v_fma_f16 v35, v170, s24, v129
	v_add_f16_e32 v63, v35, v136
	v_mul_f16_e32 v136, 0x35c8, v174
	v_mul_f16_e32 v142, 0x3b76, v161
	v_fma_f16 v35, v159, s14, -v136
	v_add_f16_e32 v35, v35, v39
	v_fma_f16 v39, v170, s26, v142
	v_mul_f16_e32 v147, 0xb836, v174
	v_add_f16_e32 v61, v39, v40
	v_mul_f16_e32 v152, 0xbacd, v161
	v_fma_f16 v39, v159, s21, -v147
	v_add_f16_e32 v40, v39, v138
	v_fma_f16 v39, v170, s4, v152
	v_mul_f16_e32 v157, 0x3964, v174
	v_mul_f16_e32 v160, 0x39e9, v161
	v_add_f16_e32 v64, v39, v141
	v_fma_f16 v39, v159, s15, -v157
	v_fma_f16 v138, v170, s27, v160
	v_add_f16_e32 v39, v39, v175
	v_add_f16_e32 v66, v138, v66
	s_barrier
	s_and_saveexec_b64 s[4:5], s[0:1]
	s_cbranch_execz .LBB0_17
; %bb.16:
	v_mul_f16_e32 v50, 0x3b76, v96
	buffer_store_dword v50, off, s[48:51], 0 ; 4-byte Folded Spill
	v_mul_f16_e32 v50, 0xb5c8, v155
	buffer_store_dword v50, off, s[48:51], 0 offset:12 ; 4-byte Folded Spill
	v_mul_f16_e32 v50, 0x39e9, v96
	buffer_store_dword v50, off, s[48:51], 0 offset:40 ; 4-byte Folded Spill
	;; [unrolled: 2-line block ×5, first 2 shown]
	v_mul_f16_e32 v50, 0x2de8, v106
	v_mul_f16_e32 v219, 0xbbb2, v155
	buffer_store_dword v50, off, s[48:51], 0 offset:48 ; 4-byte Folded Spill
	v_mul_f16_e32 v50, 0xbbf7, v162
	v_fma_f16 v220, v101, s20, v219
	v_mul_f16_e32 v221, 0x3836, v162
	buffer_store_dword v50, off, s[48:51], 0 offset:76 ; 4-byte Folded Spill
	v_mul_f16_e32 v50, 0x3722, v117
	v_add_f16_e32 v220, v60, v220
	v_fma_f16 v222, v112, s21, v221
	buffer_store_dword v50, off, s[48:51], 0 offset:8 ; 4-byte Folded Spill
	v_mul_f16_e32 v50, 0xbb29, v164
	v_add_f16_e32 v220, v222, v220
	v_mul_f16_e32 v222, 0x3964, v164
	buffer_store_dword v50, off, s[48:51], 0 offset:32 ; 4-byte Folded Spill
	v_mul_f16_e32 v50, 0xb8d2, v117
	v_fma_f16 v223, v122, s15, v222
	buffer_store_dword v50, off, s[48:51], 0 offset:60 ; 4-byte Folded Spill
	v_mul_f16_e32 v50, 0xba62, v164
	v_add_f16_e32 v220, v223, v220
	v_mul_f16_e32 v223, 0xbb29, v166
	buffer_store_dword v50, off, s[48:51], 0 offset:84 ; 4-byte Folded Spill
	v_mul_f16_e32 v50, 0x2de8, v127
	;; [unrolled: 7-line block ×6, first 2 shown]
	v_fma_f16 v228, v161, s18, v227
	buffer_store_dword v50, off, s[48:51], 0 offset:88 ; 4-byte Folded Spill
	v_add_f16_e32 v50, v228, v220
	v_mul_f16_e32 v228, 0xbbb2, v149
	v_fma_f16 v229, v96, s20, -v228
	v_mul_f16_e32 v230, 0x3836, v158
	v_add_f16_e32 v229, v29, v229
	v_fma_f16 v231, v106, s21, -v230
	v_add_f16_e32 v229, v231, v229
	v_mul_f16_e32 v231, 0x3964, v163
	v_fma_f16 v232, v117, s15, -v231
	v_add_f16_e32 v229, v232, v229
	v_mul_f16_e32 v232, 0xbb29, v165
	;; [unrolled: 3-line block ×6, first 2 shown]
	v_fma_f16 v237, v159, s18, -v236
	buffer_store_dword v50, off, s[48:51], 0 offset:20 ; 4-byte Folded Spill
	v_add_f16_e32 v50, v237, v229
	v_mul_f16_e32 v237, 0xba62, v155
	v_fma_f16 v238, v101, s18, v237
	v_mul_f16_e32 v239, 0x3bb2, v162
	v_add_f16_e32 v238, v60, v238
	v_fma_f16 v240, v112, s20, v239
	v_add_f16_e32 v238, v240, v238
	v_mul_f16_e32 v240, 0xb5c8, v164
	v_fma_f16 v241, v122, s14, v240
	v_add_f16_e32 v238, v241, v238
	v_mul_f16_e32 v241, 0xb836, v166
	;; [unrolled: 3-line block ×7, first 2 shown]
	v_fma_f16 v247, v96, s18, -v246
	v_mul_f16_e32 v248, 0x3bb2, v158
	v_add_f16_e32 v247, v29, v247
	v_fma_f16 v249, v106, s20, -v248
	v_add_f16_e32 v247, v249, v247
	v_mul_f16_e32 v249, 0xb5c8, v163
	v_fma_f16 v250, v117, s14, -v249
	v_add_f16_e32 v247, v250, v247
	v_mul_f16_e32 v250, 0xb836, v165
	;; [unrolled: 3-line block ×7, first 2 shown]
	v_fma_f16 v51, v101, s21, v255
	v_mul_f16_e32 v28, 0x3b29, v162
	v_add_f16_e32 v51, v60, v51
	v_fma_f16 v141, v112, s16, v28
	v_add_f16_e32 v51, v141, v51
	v_mul_f16_e32 v141, 0xbbf7, v164
	v_fma_f16 v190, v122, s17, v141
	v_add_f16_e32 v51, v190, v51
	v_mul_f16_e32 v190, 0x3a62, v166
	;; [unrolled: 3-line block ×7, first 2 shown]
	v_fma_f16 v138, v96, s21, -v205
	v_mul_f16_e32 v189, 0x3b29, v158
	v_add_f16_e32 v138, v29, v138
	v_fma_f16 v213, v106, s16, -v189
	v_add_f16_e32 v138, v213, v138
	v_mul_f16_e32 v213, 0xbbf7, v163
	buffer_store_dword v50, off, s[48:51], 0 offset:56 ; 4-byte Folded Spill
	v_mov_b32_e32 v50, v176
	v_fma_f16 v176, v117, s17, -v213
	v_add_f16_e32 v138, v176, v138
	v_mul_f16_e32 v176, 0x3a62, v165
	v_fma_f16 v198, v127, s18, -v176
	v_add_f16_e32 v138, v198, v138
	v_mul_f16_e32 v198, 0xb5c8, v167
	v_fma_f16 v183, v137, s14, -v198
	v_add_f16_e32 v138, v183, v138
	v_mul_f16_e32 v183, 0xb1e1, v172
	v_fma_f16 v206, v146, s19, -v183
	v_add_f16_e32 v138, v206, v138
	v_mul_f16_e32 v206, 0x3964, v173
	v_fma_f16 v229, v153, s15, -v206
	v_add_f16_e32 v138, v229, v138
	v_mul_f16_e32 v229, 0xbbb2, v174
	v_mul_f16_e32 v179, 0xbb29, v155
	v_mul_f16_e32 v181, 0xbbf7, v155
	v_fma_f16 v191, v159, s20, -v229
	v_mul_f16_e32 v155, 0xb1e1, v155
	v_mul_f16_e32 v186, 0xba62, v162
	;; [unrolled: 1-line block ×3, first 2 shown]
	v_add_f16_e32 v138, v191, v138
	v_fma_f16 v191, v101, s19, v155
	v_mul_f16_e32 v162, 0x35c8, v162
	v_mul_f16_e32 v194, 0x31e1, v164
	v_mul_f16_e32 v196, 0x3bb2, v164
	v_add_f16_e32 v191, v60, v191
	v_fma_f16 v214, v112, s14, v162
	v_mul_f16_e32 v164, 0xb836, v164
	v_mul_f16_e32 v200, 0xb1e1, v166
	v_mul_f16_e32 v202, 0x3bb2, v166
	v_mul_f16_e32 v204, 0x35c8, v166
	v_add_f16_e32 v191, v214, v191
	v_fma_f16 v214, v122, s21, v164
	v_mul_f16_e32 v166, 0x3964, v166
	;; [unrolled: 6-line block ×3, first 2 shown]
	v_add_f16_e32 v191, v214, v191
	v_fma_f16 v214, v143, s18, v171
	v_add_f16_e32 v191, v214, v191
	v_mul_f16_e32 v214, 0x3b29, v169
	v_fma_f16 v177, v150, s16, v214
	v_add_f16_e32 v177, v177, v191
	v_mul_f16_e32 v191, 0xbbb2, v168
	;; [unrolled: 3-line block ×3, first 2 shown]
	v_mul_f16_e32 v215, 0x3722, v96
	v_fma_f16 v184, v161, s17, v199
	v_mul_f16_e32 v149, 0xb1e1, v149
	v_fma_f16 v155, v101, s19, -v155
	v_mul_f16_e32 v185, 0xb8d2, v106
	v_add_f16_e32 v177, v184, v177
	v_fma_f16 v184, v96, s19, -v149
	v_mul_f16_e32 v158, 0x35c8, v158
	v_add_f16_e32 v155, v60, v155
	v_fma_f16 v162, v112, s14, -v162
	v_fma_f16 v149, v96, s19, v149
	v_add_f16_e32 v86, v215, v86
	v_mul_f16_e32 v193, 0xbbdd, v117
	v_add_f16_e32 v184, v29, v184
	v_fma_f16 v207, v106, s14, -v158
	v_mul_f16_e32 v163, 0xb836, v163
	v_add_f16_e32 v155, v162, v155
	v_fma_f16 v164, v122, s21, -v164
	v_add_f16_e32 v149, v29, v149
	v_fma_f16 v158, v106, s14, v158
	v_add_f16_e32 v86, v29, v86
	v_add_f16_e32 v92, v185, v92
	v_mul_f16_e32 v201, 0xb461, v127
	v_add_f16_e32 v184, v207, v184
	v_fma_f16 v207, v117, s21, -v163
	v_mul_f16_e32 v165, 0x3964, v165
	v_add_f16_e32 v155, v164, v155
	v_fma_f16 v166, v133, s15, -v166
	v_add_f16_e32 v149, v158, v149
	v_fma_f16 v163, v117, s21, v163
	v_add_f16_e32 v86, v92, v86
	;; [unrolled: 10-line block ×4, first 2 shown]
	v_add_f16_e32 v92, v209, v121
	v_add_f16_e32 v184, v207, v184
	v_fma_f16 v207, v146, s16, -v172
	v_add_f16_e32 v155, v214, v155
	v_mul_f16_e32 v214, 0x2de8, v153
	v_add_f16_e32 v149, v167, v149
	v_fma_f16 v172, v146, s16, v172
	v_add_f16_e32 v86, v92, v86
	v_add_f16_e32 v92, v217, v131
	;; [unrolled: 1-line block ×3, first 2 shown]
	v_mul_f16_e32 v172, 0xbacd, v159
	v_add_f16_e32 v86, v92, v86
	v_add_f16_e32 v92, v214, v139
	;; [unrolled: 1-line block ×5, first 2 shown]
	buffer_load_dword v92, off, s[48:51], 0 offset:68 ; 4-byte Folded Reload
	v_mul_f16_e32 v216, 0x3bb2, v169
	v_mul_f16_e32 v171, 0x3b29, v168
	;; [unrolled: 1-line block ×7, first 2 shown]
	v_fma_f16 v255, v101, s21, -v255
	v_add_f16_e32 v255, v60, v255
	v_fma_f16 v28, v112, s16, -v28
	v_add_f16_e32 v28, v28, v255
	;; [unrolled: 2-line block ×8, first 2 shown]
	v_fma_f16 v141, v96, s21, v205
	v_add_f16_e32 v141, v29, v141
	v_fma_f16 v175, v106, s16, v189
	v_add_f16_e32 v141, v175, v141
	;; [unrolled: 2-line block ×8, first 2 shown]
	v_fma_f16 v175, v101, s18, -v237
	v_add_f16_e32 v175, v60, v175
	v_fma_f16 v176, v112, s20, -v239
	v_add_f16_e32 v175, v176, v175
	;; [unrolled: 2-line block ×6, first 2 shown]
	v_fma_f16 v176, v156, s19, -v244
	v_mul_f16_e32 v180, 0x2de8, v96
	v_add_f16_e32 v175, v176, v175
	v_fma_f16 v176, v161, s16, -v245
	v_add_f16_e32 v175, v176, v175
	v_fma_f16 v176, v96, s18, v246
	v_fma_f16 v96, v96, s20, v228
	v_add_f16_e32 v95, v180, v95
	v_add_f16_e32 v176, v29, v176
	;; [unrolled: 1-line block ×4, first 2 shown]
	v_mul_f16_e32 v187, 0xbbdd, v106
	v_fma_f16 v182, v106, s20, v248
	v_fma_f16 v106, v106, s21, v230
	v_add_f16_e32 v96, v106, v96
	v_fma_f16 v106, v117, s15, v231
	v_add_f16_e32 v96, v106, v96
	;; [unrolled: 2-line block ×5, first 2 shown]
	v_fma_f16 v106, v153, s14, v235
	v_sub_f16_e32 v89, v89, v179
	v_fma_f16 v101, v101, s20, -v219
	v_add_f16_e32 v96, v106, v96
	v_fma_f16 v106, v159, s18, v236
	s_waitcnt vmcnt(0)
	v_sub_f16_e32 v82, v82, v92
	buffer_load_dword v92, off, s[48:51], 0 offset:76 ; 4-byte Folded Reload
	v_add_f16_e32 v82, v60, v82
	v_sub_f16_e32 v100, v100, v181
	v_add_f16_e32 v89, v60, v89
	v_sub_f16_e32 v97, v97, v186
	v_mul_f16_e32 v195, 0xb461, v117
	v_mul_f16_e32 v173, 0xbbb2, v173
	v_add_f16_e32 v101, v60, v101
	v_fma_f16 v112, v112, s21, -v221
	v_add_f16_e32 v96, v106, v96
	v_add_f16_e32 v100, v60, v100
	v_sub_f16_e32 v106, v110, v188
	v_add_f16_e32 v105, v187, v105
	v_add_f16_e32 v89, v97, v89
	v_sub_f16_e32 v97, v107, v194
	v_mul_f16_e32 v203, 0x3b76, v127
	v_add_f16_e32 v184, v207, v184
	v_fma_f16 v207, v153, s20, -v173
	v_mul_f16_e32 v174, 0x3bf7, v174
	v_add_f16_e32 v101, v112, v101
	v_fma_f16 v112, v122, s15, -v222
	v_add_f16_e32 v100, v106, v100
	v_sub_f16_e32 v106, v120, v196
	v_add_f16_e32 v95, v105, v95
	v_add_f16_e32 v105, v195, v115
	;; [unrolled: 1-line block ×3, first 2 shown]
	v_sub_f16_e32 v97, v116, v202
	v_mul_f16_e32 v211, 0x3722, v137
	v_mul_f16_e32 v218, 0xb5c8, v169
	v_add_f16_e32 v184, v207, v184
	v_fma_f16 v207, v159, s17, -v174
	v_mul_f16_e32 v162, 0xbacd, v153
	v_fma_f16 v191, v156, s20, -v191
	v_add_f16_e32 v176, v182, v176
	v_fma_f16 v182, v117, s14, v249
	v_add_f16_e32 v101, v112, v101
	v_fma_f16 v112, v133, s16, -v223
	v_add_f16_e32 v100, v106, v100
	v_sub_f16_e32 v106, v130, v204
	v_add_f16_e32 v95, v105, v95
	v_add_f16_e32 v105, v203, v125
	;; [unrolled: 1-line block ×3, first 2 shown]
	v_sub_f16_e32 v97, v128, v210
	v_add_f16_e32 v184, v207, v184
	v_mul_f16_e32 v207, 0xbacd, v146
	v_mul_f16_e32 v169, 0xb836, v169
	v_add_f16_e32 v155, v191, v155
	v_mul_f16_e32 v191, 0xbbf7, v168
	v_fma_f16 v199, v161, s17, -v199
	v_mul_f16_e32 v158, 0xbbdd, v159
	v_fma_f16 v173, v153, s20, v173
	v_add_f16_e32 v176, v182, v176
	v_fma_f16 v182, v127, s21, v250
	v_add_f16_e32 v101, v112, v101
	v_fma_f16 v112, v143, s19, -v224
	v_add_f16_e32 v100, v106, v100
	v_sub_f16_e32 v106, v140, v212
	v_add_f16_e32 v95, v105, v95
	v_add_f16_e32 v105, v211, v134
	v_add_f16_e32 v89, v97, v89
	v_sub_f16_e32 v97, v135, v218
	v_add_f16_e32 v155, v199, v155
	v_mul_f16_e32 v199, 0xb8d2, v153
	v_mul_f16_e32 v168, 0x3a62, v168
	v_add_f16_e32 v149, v173, v149
	v_mul_f16_e32 v173, 0xb836, v170
	v_fma_f16 v174, v159, s17, v174
	v_add_f16_e32 v176, v182, v176
	v_fma_f16 v182, v137, s17, v251
	v_add_f16_e32 v101, v112, v101
	v_fma_f16 v112, v150, s17, -v225
	v_add_f16_e32 v100, v106, v100
	v_sub_f16_e32 v106, v148, v169
	v_add_f16_e32 v95, v105, v95
	v_add_f16_e32 v105, v207, v144
	;; [unrolled: 1-line block ×3, first 2 shown]
	v_sub_f16_e32 v97, v145, v191
	v_add_f16_e32 v149, v174, v149
	v_mul_f16_e32 v174, 0x39e9, v159
	v_mul_f16_e32 v170, 0x3964, v170
	s_waitcnt vmcnt(0)
	v_sub_f16_e32 v87, v87, v92
	v_add_f16_e32 v82, v87, v82
	buffer_load_dword v87, off, s[48:51], 0 offset:84 ; 4-byte Folded Reload
	v_add_f16_e32 v176, v182, v176
	v_fma_f16 v182, v146, s15, v252
	v_add_f16_e32 v101, v112, v101
	v_fma_f16 v112, v156, s14, -v226
	v_add_f16_e32 v100, v106, v100
	v_sub_f16_e32 v106, v154, v168
	v_add_f16_e32 v95, v105, v95
	v_add_f16_e32 v105, v199, v151
	;; [unrolled: 1-line block ×3, first 2 shown]
	v_sub_f16_e32 v97, v152, v173
	v_add_f16_e32 v176, v182, v176
	v_fma_f16 v182, v153, s19, v253
	v_add_f16_e32 v101, v112, v101
	v_fma_f16 v112, v161, s18, -v227
	v_add_f16_e32 v100, v106, v100
	v_sub_f16_e32 v106, v160, v170
	v_add_f16_e32 v95, v105, v95
	v_add_f16_e32 v105, v174, v157
	;; [unrolled: 1-line block ×4, first 2 shown]
	v_fma_f16 v182, v159, s16, v254
	v_add_f16_e32 v101, v112, v101
	v_add_f16_e32 v100, v106, v100
	;; [unrolled: 1-line block ×4, first 2 shown]
	v_pack_b32_f16 v28, v141, v28
	s_mov_b32 s14, 0x5040100
	s_waitcnt vmcnt(0)
	v_sub_f16_e32 v87, v93, v87
	v_add_f16_e32 v82, v87, v82
	v_sub_f16_e32 v87, v103, v200
	v_add_f16_e32 v82, v87, v82
	;; [unrolled: 2-line block ×6, first 2 shown]
	buffer_load_dword v87, off, s[48:51], 0 offset:40 ; 4-byte Folded Reload
	s_waitcnt vmcnt(0)
	v_add_f16_e32 v80, v87, v80
	buffer_load_dword v87, off, s[48:51], 0 offset:48 ; 4-byte Folded Reload
	v_add_f16_e32 v80, v29, v80
	s_waitcnt vmcnt(0)
	v_add_f16_e32 v84, v87, v84
	v_add_f16_e32 v80, v84, v80
	buffer_load_dword v84, off, s[48:51], 0 offset:60 ; 4-byte Folded Reload
	s_waitcnt vmcnt(0)
	v_add_f16_e32 v84, v84, v90
	v_add_f16_e32 v80, v84, v80
	buffer_load_dword v84, off, s[48:51], 0 offset:72 ; 4-byte Folded Reload
	;; [unrolled: 4-line block ×4, first 2 shown]
	s_waitcnt vmcnt(0)
	v_add_f16_e32 v84, v84, v118
	v_add_f16_e32 v80, v84, v80
	;; [unrolled: 1-line block ×6, first 2 shown]
	buffer_load_dword v84, off, s[48:51], 0 offset:12 ; 4-byte Folded Reload
	s_waitcnt vmcnt(0)
	v_sub_f16_e32 v78, v78, v84
	buffer_load_dword v84, off, s[48:51], 0 offset:24 ; 4-byte Folded Reload
	v_add_f16_e32 v78, v60, v78
	s_waitcnt vmcnt(0)
	v_sub_f16_e32 v81, v81, v84
	v_add_f16_e32 v78, v81, v78
	buffer_load_dword v81, off, s[48:51], 0 offset:32 ; 4-byte Folded Reload
	s_waitcnt vmcnt(0)
	v_sub_f16_e32 v81, v85, v81
	v_add_f16_e32 v78, v81, v78
	buffer_load_dword v81, off, s[48:51], 0 offset:44 ; 4-byte Folded Reload
	;; [unrolled: 4-line block ×4, first 2 shown]
	s_waitcnt vmcnt(0)
	v_sub_f16_e32 v81, v109, v81
	v_add_f16_e32 v78, v81, v78
	v_sub_f16_e32 v81, v119, v164
	v_add_f16_e32 v78, v81, v78
	;; [unrolled: 2-line block ×3, first 2 shown]
	buffer_load_dword v81, off, s[48:51], 0 ; 4-byte Folded Reload
	s_waitcnt vmcnt(0)
	v_add_f16_e32 v77, v81, v77
	buffer_load_dword v81, off, s[48:51], 0 offset:4 ; 4-byte Folded Reload
	v_add_f16_e32 v77, v29, v77
	v_add_f16_e32 v29, v30, v29
	;; [unrolled: 1-line block ×33, first 2 shown]
	v_lshlrev_b32_e32 v31, 2, v178
	v_pack_b32_f16 v29, v29, v30
	v_pack_b32_f16 v30, v80, v82
	s_waitcnt vmcnt(0)
	v_add_f16_e32 v79, v81, v79
	v_add_f16_e32 v77, v79, v77
	buffer_load_dword v79, off, s[48:51], 0 offset:8 ; 4-byte Folded Reload
	s_waitcnt vmcnt(0)
	v_add_f16_e32 v79, v79, v83
	v_add_f16_e32 v77, v79, v77
	buffer_load_dword v79, off, s[48:51], 0 offset:16 ; 4-byte Folded Reload
	;; [unrolled: 4-line block ×4, first 2 shown]
	s_waitcnt vmcnt(0)
	v_add_f16_e32 v79, v79, v104
	v_add_f16_e32 v77, v79, v77
	v_add_f16_e32 v79, v162, v113
	v_add_f16_e32 v77, v79, v77
	v_add_f16_e32 v79, v158, v124
	v_add_f16_e32 v77, v79, v77
	v_pack_b32_f16 v32, v77, v78
	ds_write2_b32 v31, v29, v32 offset1:1
	v_pack_b32_f16 v29, v86, v89
	ds_write2_b32 v31, v30, v29 offset0:2 offset1:3
	v_pack_b32_f16 v29, v95, v100
	v_pack_b32_f16 v30, v96, v101
	ds_write2_b32 v31, v29, v30 offset0:4 offset1:5
	v_pack_b32_f16 v29, v176, v175
	ds_write2_b32 v31, v29, v28 offset0:6 offset1:7
	v_pack_b32_f16 v28, v184, v177
	v_pack_b32_f16 v29, v149, v155
	ds_write2_b32 v31, v29, v28 offset0:8 offset1:9
	v_pack_b32_f16 v28, v247, v238
	v_pack_b32_f16 v29, v138, v51
	ds_write2_b32 v31, v29, v28 offset0:10 offset1:11
	buffer_load_dword v28, off, s[48:51], 0 offset:20 ; 4-byte Folded Reload
	buffer_load_dword v29, off, s[48:51], 0 offset:56 ; 4-byte Folded Reload
	v_mov_b32_e32 v176, v50
	s_waitcnt vmcnt(0)
	v_pack_b32_f16 v28, v29, v28
	v_perm_b32 v29, v66, v39, s14
	ds_write2_b32 v31, v28, v29 offset0:12 offset1:13
	v_perm_b32 v28, v61, v35, s14
	v_perm_b32 v29, v64, v40, s14
	ds_write2_b32 v31, v29, v28 offset0:14 offset1:15
	v_perm_b32 v28, v63, v36, s14
	ds_write_b32 v31, v28 offset:64
.LBB0_17:
	s_or_b64 exec, exec, s[4:5]
	s_waitcnt lgkmcnt(0)
	s_barrier
	ds_read2_b32 v[30:31], v49 offset1:153
	v_add_u32_e32 v28, 0x400, v49
	ds_read2_b32 v[32:33], v28 offset0:50 offset1:203
	v_add_u32_e32 v28, 0x800, v49
	ds_read2_b32 v[37:38], v28 offset0:100 offset1:253
	s_waitcnt lgkmcnt(2)
	v_lshrrev_b32_e32 v34, 16, v31
	v_add_u32_e32 v28, 0xe00, v49
	v_mul_f16_sdwa v67, v8, v34 dst_sel:DWORD dst_unused:UNUSED_PAD src0_sel:WORD_1 src1_sel:DWORD
	ds_read2_b32 v[41:42], v28 offset0:22 offset1:175
	s_waitcnt lgkmcnt(2)
	v_lshrrev_b32_e32 v28, 16, v32
	v_fma_f16 v67, v8, v31, v67
	v_mul_f16_sdwa v31, v8, v31 dst_sel:DWORD dst_unused:UNUSED_PAD src0_sel:WORD_1 src1_sel:DWORD
	v_add_u32_e32 v29, 0x1200, v49
	v_fma_f16 v8, v8, v34, -v31
	v_mul_f16_sdwa v31, v9, v28 dst_sel:DWORD dst_unused:UNUSED_PAD src0_sel:WORD_1 src1_sel:DWORD
	v_lshrrev_b32_e32 v47, 16, v33
	ds_read2_b32 v[43:44], v29 offset0:72 offset1:225
	v_fma_f16 v31, v9, v32, v31
	v_mul_f16_sdwa v32, v9, v32 dst_sel:DWORD dst_unused:UNUSED_PAD src0_sel:WORD_1 src1_sel:DWORD
	s_waitcnt lgkmcnt(2)
	v_lshrrev_b32_e32 v48, 16, v37
	v_add_u32_e32 v29, 0x1700, v49
	v_fma_f16 v9, v9, v28, -v32
	v_mul_f16_sdwa v28, v10, v47 dst_sel:DWORD dst_unused:UNUSED_PAD src0_sel:WORD_1 src1_sel:DWORD
	v_mul_f16_sdwa v32, v10, v33 dst_sel:DWORD dst_unused:UNUSED_PAD src0_sel:WORD_1 src1_sel:DWORD
	v_lshrrev_b32_e32 v51, 16, v38
	ds_read2_b32 v[45:46], v29 offset0:58 offset1:211
	v_fma_f16 v28, v10, v33, v28
	v_fma_f16 v10, v10, v47, -v32
	v_mul_f16_sdwa v32, v11, v48 dst_sel:DWORD dst_unused:UNUSED_PAD src0_sel:WORD_1 src1_sel:DWORD
	v_mul_f16_sdwa v33, v11, v37 dst_sel:DWORD dst_unused:UNUSED_PAD src0_sel:WORD_1 src1_sel:DWORD
	s_waitcnt lgkmcnt(2)
	v_lshrrev_b32_e32 v55, 16, v41
	v_fma_f16 v32, v11, v37, v32
	v_fma_f16 v11, v11, v48, -v33
	v_mul_f16_sdwa v33, v12, v51 dst_sel:DWORD dst_unused:UNUSED_PAD src0_sel:WORD_1 src1_sel:DWORD
	v_mul_f16_sdwa v34, v12, v38 dst_sel:DWORD dst_unused:UNUSED_PAD src0_sel:WORD_1 src1_sel:DWORD
	v_lshrrev_b32_e32 v56, 16, v42
	ds_read_b32 v57, v49 offset:7344
	v_fma_f16 v33, v12, v38, v33
	v_fma_f16 v12, v12, v51, -v34
	v_mul_f16_sdwa v34, v13, v55 dst_sel:DWORD dst_unused:UNUSED_PAD src0_sel:WORD_1 src1_sel:DWORD
	v_mul_f16_sdwa v37, v13, v41 dst_sel:DWORD dst_unused:UNUSED_PAD src0_sel:WORD_1 src1_sel:DWORD
	s_waitcnt lgkmcnt(2)
	v_lshrrev_b32_e32 v58, 16, v43
	v_fma_f16 v34, v13, v41, v34
	v_fma_f16 v13, v13, v55, -v37
	v_mul_f16_sdwa v37, v14, v56 dst_sel:DWORD dst_unused:UNUSED_PAD src0_sel:WORD_1 src1_sel:DWORD
	v_mul_f16_sdwa v38, v14, v42 dst_sel:DWORD dst_unused:UNUSED_PAD src0_sel:WORD_1 src1_sel:DWORD
	v_lshrrev_b32_e32 v59, 16, v44
	v_fma_f16 v37, v14, v42, v37
	v_fma_f16 v14, v14, v56, -v38
	v_mul_f16_sdwa v38, v15, v58 dst_sel:DWORD dst_unused:UNUSED_PAD src0_sel:WORD_1 src1_sel:DWORD
	v_mul_f16_sdwa v41, v15, v43 dst_sel:DWORD dst_unused:UNUSED_PAD src0_sel:WORD_1 src1_sel:DWORD
	s_waitcnt lgkmcnt(1)
	v_lshrrev_b32_e32 v60, 16, v45
	v_fma_f16 v38, v15, v43, v38
	v_fma_f16 v15, v15, v58, -v41
	v_mul_f16_sdwa v41, v16, v59 dst_sel:DWORD dst_unused:UNUSED_PAD src0_sel:WORD_1 src1_sel:DWORD
	v_mul_f16_sdwa v42, v16, v44 dst_sel:DWORD dst_unused:UNUSED_PAD src0_sel:WORD_1 src1_sel:DWORD
	v_lshrrev_b32_e32 v62, 16, v46
	v_fma_f16 v41, v16, v44, v41
	v_fma_f16 v16, v16, v59, -v42
	v_mul_f16_sdwa v42, v17, v60 dst_sel:DWORD dst_unused:UNUSED_PAD src0_sel:WORD_1 src1_sel:DWORD
	v_mul_f16_sdwa v43, v17, v45 dst_sel:DWORD dst_unused:UNUSED_PAD src0_sel:WORD_1 src1_sel:DWORD
	s_waitcnt lgkmcnt(0)
	v_lshrrev_b32_e32 v65, 16, v57
	v_fma_f16 v42, v17, v45, v42
	v_fma_f16 v17, v17, v60, -v43
	v_mul_f16_sdwa v43, v18, v62 dst_sel:DWORD dst_unused:UNUSED_PAD src0_sel:WORD_1 src1_sel:DWORD
	v_mul_f16_sdwa v44, v18, v46 dst_sel:DWORD dst_unused:UNUSED_PAD src0_sel:WORD_1 src1_sel:DWORD
	v_fma_f16 v43, v18, v46, v43
	v_fma_f16 v18, v18, v62, -v44
	v_mul_f16_sdwa v44, v19, v65 dst_sel:DWORD dst_unused:UNUSED_PAD src0_sel:WORD_1 src1_sel:DWORD
	v_mul_f16_sdwa v45, v19, v57 dst_sel:DWORD dst_unused:UNUSED_PAD src0_sel:WORD_1 src1_sel:DWORD
	v_fma_f16 v44, v19, v57, v44
	v_fma_f16 v19, v19, v65, -v45
	v_add_f16_e32 v45, v30, v67
	v_add_f16_sdwa v46, v30, v8 dst_sel:DWORD dst_unused:UNUSED_PAD src0_sel:WORD_1 src1_sel:DWORD
	v_add_f16_e32 v45, v45, v31
	v_add_f16_e32 v46, v46, v9
	;; [unrolled: 1-line block ×21, first 2 shown]
	v_sub_f16_e32 v8, v8, v19
	v_add_f16_e32 v45, v45, v44
	v_add_f16_e32 v46, v46, v19
	;; [unrolled: 1-line block ×3, first 2 shown]
	v_sub_f16_e32 v44, v67, v44
	s_mov_b32 s18, 0xb770
	v_mul_f16_e32 v19, 0xb770, v8
	s_movk_i32 s19, 0x3b15
	v_mul_f16_e32 v55, 0x3b15, v48
	s_movk_i32 s20, 0x3770
	s_mov_b32 s15, 0xba95
	v_mul_f16_e32 v57, 0xba95, v8
	s_movk_i32 s16, 0x388b
	v_mul_f16_e32 v59, 0x388b, v48
	s_movk_i32 s17, 0x3a95
	;; [unrolled: 5-line block ×3, first 2 shown]
	s_mov_b32 s21, 0xbb7b
	v_mul_f16_e32 v69, 0xbb7b, v8
	s_mov_b32 s22, 0xb5ac
	v_mul_f16_e32 v71, 0xb5ac, v48
	s_movk_i32 s23, 0x3b7b
	s_mov_b32 s24, 0xb94e
	v_mul_f16_e32 v73, 0xb94e, v8
	s_mov_b32 s25, 0xb9fd
	v_mul_f16_e32 v75, 0xb9fd, v48
	s_movk_i32 s26, 0x394e
	;; [unrolled: 5-line block ×3, first 2 shown]
	v_fma_f16 v51, v47, s19, v19
	v_fma_f16 v56, v44, s20, v55
	v_fma_f16 v19, v47, s19, -v19
	v_fma_f16 v55, v44, s18, v55
	v_fma_f16 v58, v47, s16, v57
	v_fma_f16 v60, v44, s17, v59
	v_fma_f16 v57, v47, s16, -v57
	v_fma_f16 v59, v44, s15, v59
	;; [unrolled: 4-line block ×6, first 2 shown]
	v_add_f16_e32 v47, v9, v18
	v_sub_f16_e32 v9, v9, v18
	v_add_f16_e32 v51, v30, v51
	v_add_f16_sdwa v56, v30, v56 dst_sel:DWORD dst_unused:UNUSED_PAD src0_sel:WORD_1 src1_sel:DWORD
	v_add_f16_e32 v19, v30, v19
	v_add_f16_sdwa v55, v30, v55 dst_sel:DWORD dst_unused:UNUSED_PAD src0_sel:WORD_1 src1_sel:DWORD
	;; [unrolled: 2-line block ×12, first 2 shown]
	v_add_f16_e32 v44, v31, v43
	v_mul_f16_e32 v18, 0xba95, v9
	v_sub_f16_e32 v31, v31, v43
	v_fma_f16 v43, v44, s16, v18
	v_mul_f16_e32 v48, 0x388b, v47
	v_fma_f16 v18, v44, s16, -v18
	v_add_f16_e32 v43, v43, v51
	v_fma_f16 v51, v31, s17, v48
	v_add_f16_e32 v18, v18, v19
	v_fma_f16 v19, v31, s15, v48
	v_mul_f16_e32 v48, 0xbb7b, v9
	v_add_f16_e32 v51, v51, v56
	v_add_f16_e32 v19, v19, v55
	v_fma_f16 v55, v44, s22, v48
	v_mul_f16_e32 v56, 0xb5ac, v47
	v_fma_f16 v48, v44, s22, -v48
	v_add_f16_e32 v55, v55, v58
	v_fma_f16 v58, v31, s23, v56
	v_add_f16_e32 v48, v48, v57
	v_fma_f16 v56, v31, s21, v56
	v_mul_f16_e32 v57, 0xb3a8, v9
	v_add_f16_e32 v58, v58, v60
	v_add_f16_e32 v56, v56, v59
	;; [unrolled: 10-line block ×4, first 2 shown]
	v_fma_f16 v71, v44, s5, v69
	v_mul_f16_e32 v72, 0x2fb7, v47
	v_fma_f16 v69, v44, s5, -v69
	v_mul_f16_e32 v9, 0x3770, v9
	v_add_f16_e32 v71, v71, v74
	v_fma_f16 v74, v31, s4, v72
	v_add_f16_e32 v69, v69, v73
	v_fma_f16 v72, v31, s14, v72
	v_fma_f16 v73, v44, s19, v9
	v_mul_f16_e32 v47, 0x3b15, v47
	v_fma_f16 v9, v44, s19, -v9
	v_add_f16_e32 v72, v72, v75
	v_fma_f16 v75, v31, s18, v47
	v_add_f16_e32 v8, v9, v8
	v_fma_f16 v9, v31, s20, v47
	v_add_f16_e32 v31, v10, v17
	v_sub_f16_e32 v10, v10, v17
	v_add_f16_e32 v9, v9, v30
	v_add_f16_e32 v30, v28, v42
	v_mul_f16_e32 v17, 0xbbf1, v10
	v_sub_f16_e32 v28, v28, v42
	v_fma_f16 v42, v30, s5, v17
	v_add_f16_e32 v42, v42, v43
	v_mul_f16_e32 v43, 0x2fb7, v31
	v_fma_f16 v17, v30, s5, -v17
	v_add_f16_e32 v17, v17, v18
	v_fma_f16 v18, v28, s4, v43
	v_add_f16_e32 v18, v18, v19
	v_mul_f16_e32 v19, 0xb3a8, v10
	v_fma_f16 v44, v28, s14, v43
	v_fma_f16 v43, v30, s28, v19
	v_fma_f16 v19, v30, s28, -v19
	v_mul_f16_e32 v47, 0xbbc4, v31
	v_add_f16_e32 v19, v19, v48
	v_mul_f16_e32 v48, 0x3b7b, v10
	v_add_f16_e32 v44, v44, v51
	v_add_f16_e32 v43, v43, v55
	v_fma_f16 v51, v28, s29, v47
	v_fma_f16 v47, v28, s27, v47
	;; [unrolled: 1-line block ×3, first 2 shown]
	v_fma_f16 v48, v30, s22, -v48
	v_add_f16_e32 v47, v47, v56
	v_mul_f16_e32 v56, 0xb5ac, v31
	v_add_f16_e32 v48, v48, v57
	v_mul_f16_e32 v57, 0x3770, v10
	v_add_f16_e32 v51, v51, v58
	v_add_f16_e32 v55, v55, v59
	v_fma_f16 v58, v28, s21, v56
	v_fma_f16 v56, v28, s23, v56
	;; [unrolled: 1-line block ×3, first 2 shown]
	v_fma_f16 v57, v30, s19, -v57
	v_add_f16_e32 v56, v56, v60
	v_mul_f16_e32 v60, 0x3b15, v31
	v_add_f16_e32 v57, v57, v62
	v_mul_f16_e32 v62, 0xba95, v10
	v_add_f16_e32 v58, v58, v65
	v_add_f16_e32 v59, v59, v67
	v_fma_f16 v65, v28, s18, v60
	v_fma_f16 v60, v28, s20, v60
	;; [unrolled: 1-line block ×3, first 2 shown]
	v_fma_f16 v62, v30, s16, -v62
	v_mul_f16_e32 v10, 0xb94e, v10
	v_add_f16_e32 v60, v60, v68
	v_mul_f16_e32 v68, 0x388b, v31
	v_add_f16_e32 v62, v62, v69
	v_fma_f16 v69, v30, s25, v10
	v_mul_f16_e32 v31, 0xb9fd, v31
	v_fma_f16 v10, v30, s25, -v10
	v_add_f16_e32 v65, v65, v70
	v_add_f16_e32 v67, v67, v71
	v_fma_f16 v70, v28, s17, v68
	v_fma_f16 v68, v28, s15, v68
	;; [unrolled: 1-line block ×3, first 2 shown]
	v_add_f16_e32 v8, v10, v8
	v_fma_f16 v10, v28, s24, v31
	v_add_f16_e32 v28, v11, v16
	v_sub_f16_e32 v11, v11, v16
	v_add_f16_e32 v9, v10, v9
	v_add_f16_e32 v10, v32, v41
	v_mul_f16_e32 v16, 0xbb7b, v11
	v_sub_f16_e32 v30, v32, v41
	v_fma_f16 v31, v10, s22, v16
	v_mul_f16_e32 v32, 0xb5ac, v28
	v_fma_f16 v16, v10, s22, -v16
	v_add_f16_e32 v16, v16, v17
	v_fma_f16 v17, v30, s21, v32
	v_add_f16_e32 v17, v17, v18
	v_mul_f16_e32 v18, 0x394e, v11
	v_add_f16_e32 v31, v31, v42
	v_fma_f16 v41, v30, s23, v32
	v_fma_f16 v32, v10, s25, v18
	v_mul_f16_e32 v42, 0xb9fd, v28
	v_fma_f16 v18, v10, s25, -v18
	v_add_f16_e32 v32, v32, v43
	v_fma_f16 v43, v30, s24, v42
	v_add_f16_e32 v18, v18, v19
	v_fma_f16 v19, v30, s26, v42
	v_mul_f16_e32 v42, 0x3770, v11
	v_add_f16_e32 v41, v41, v44
	v_fma_f16 v44, v10, s19, v42
	v_fma_f16 v42, v10, s19, -v42
	v_add_f16_e32 v19, v19, v47
	v_mul_f16_e32 v47, 0x3b15, v28
	v_add_f16_e32 v42, v42, v48
	v_mul_f16_e32 v48, 0xbbf1, v11
	v_add_f16_e32 v43, v43, v51
	v_add_f16_e32 v44, v44, v55
	v_fma_f16 v51, v30, s18, v47
	v_fma_f16 v47, v30, s20, v47
	;; [unrolled: 1-line block ×3, first 2 shown]
	v_fma_f16 v48, v10, s5, -v48
	v_add_f16_e32 v47, v47, v56
	v_mul_f16_e32 v56, 0x2fb7, v28
	v_add_f16_e32 v48, v48, v57
	v_mul_f16_e32 v57, 0x33a8, v11
	v_add_f16_e32 v51, v51, v58
	v_add_f16_e32 v55, v55, v59
	v_fma_f16 v58, v30, s14, v56
	v_fma_f16 v56, v30, s4, v56
	;; [unrolled: 1-line block ×3, first 2 shown]
	v_fma_f16 v57, v10, s28, -v57
	v_mul_f16_e32 v11, 0x3a95, v11
	v_add_f16_e32 v56, v56, v60
	v_mul_f16_e32 v60, 0xbbc4, v28
	v_add_f16_e32 v57, v57, v62
	v_fma_f16 v62, v10, s16, v11
	v_mul_f16_e32 v28, 0x388b, v28
	v_fma_f16 v10, v10, s16, -v11
	v_add_f16_e32 v8, v10, v8
	v_fma_f16 v10, v30, s17, v28
	v_add_f16_e32 v11, v12, v15
	v_sub_f16_e32 v12, v12, v15
	v_add_f16_e32 v9, v10, v9
	v_add_f16_e32 v10, v33, v38
	v_mul_f16_e32 v15, 0xb94e, v12
	v_add_f16_e32 v58, v58, v65
	v_add_f16_e32 v59, v59, v67
	v_fma_f16 v65, v30, s27, v60
	v_fma_f16 v60, v30, s29, v60
	;; [unrolled: 1-line block ×4, first 2 shown]
	v_sub_f16_e32 v28, v33, v38
	v_add_f16_e32 v30, v30, v31
	v_mul_f16_e32 v31, 0xb9fd, v11
	v_fma_f16 v15, v10, s25, -v15
	v_add_f16_e32 v15, v15, v16
	v_fma_f16 v16, v28, s24, v31
	v_add_f16_e32 v16, v16, v17
	v_mul_f16_e32 v17, 0x3bf1, v12
	v_fma_f16 v33, v28, s26, v31
	v_fma_f16 v31, v10, s5, v17
	v_add_f16_e32 v32, v31, v32
	v_mul_f16_e32 v31, 0x2fb7, v11
	v_fma_f16 v17, v10, s5, -v17
	v_add_f16_e32 v17, v17, v18
	v_fma_f16 v18, v28, s14, v31
	v_add_f16_e32 v18, v18, v19
	v_mul_f16_e32 v19, 0xba95, v12
	v_fma_f16 v38, v28, s4, v31
	v_fma_f16 v31, v10, s16, v19
	v_add_f16_e32 v33, v33, v41
	v_add_f16_e32 v41, v31, v44
	v_mul_f16_e32 v31, 0x388b, v11
	v_add_f16_e32 v38, v38, v43
	v_fma_f16 v43, v28, s17, v31
	v_fma_f16 v19, v10, s16, -v19
	v_fma_f16 v31, v28, s15, v31
	v_add_f16_e32 v19, v19, v42
	v_add_f16_e32 v42, v31, v47
	v_mul_f16_e32 v31, 0x33a8, v12
	v_fma_f16 v44, v10, s28, v31
	v_mul_f16_e32 v47, 0xbbc4, v11
	v_fma_f16 v31, v10, s28, -v31
	v_add_f16_e32 v48, v31, v48
	v_fma_f16 v31, v28, s29, v47
	v_add_f16_e32 v43, v43, v51
	v_fma_f16 v51, v28, s27, v47
	v_add_f16_e32 v47, v31, v56
	v_mul_f16_e32 v31, 0x3770, v12
	v_add_f16_e32 v74, v74, v76
	v_add_f16_e32 v68, v68, v72
	;; [unrolled: 1-line block ×3, first 2 shown]
	v_fma_f16 v55, v10, s19, v31
	v_mul_f16_e32 v56, 0x3b15, v11
	v_fma_f16 v31, v10, s19, -v31
	v_add_f16_e32 v73, v73, v77
	v_add_f16_e32 v70, v70, v74
	;; [unrolled: 1-line block ×4, first 2 shown]
	v_fma_f16 v31, v28, s20, v56
	v_mul_f16_e32 v12, 0xbb7b, v12
	v_add_f16_e32 v69, v69, v73
	v_add_f16_e32 v65, v65, v70
	;; [unrolled: 1-line block ×3, first 2 shown]
	v_fma_f16 v58, v28, s18, v56
	v_add_f16_e32 v56, v31, v60
	v_fma_f16 v31, v10, s22, v12
	v_mul_f16_e32 v11, 0xb5ac, v11
	v_fma_f16 v10, v10, s22, -v12
	v_add_f16_e32 v62, v62, v69
	v_add_f16_e32 v58, v58, v65
	;; [unrolled: 1-line block ×3, first 2 shown]
	v_fma_f16 v8, v28, s21, v11
	v_add_f16_e32 v65, v13, v14
	v_sub_f16_e32 v13, v13, v14
	v_add_f16_e32 v55, v55, v59
	v_add_f16_e32 v59, v31, v62
	v_fma_f16 v31, v28, s23, v11
	v_add_f16_e32 v28, v8, v9
	v_add_f16_e32 v62, v34, v37
	v_mul_f16_e32 v8, 0xb3a8, v13
	v_add_f16_e32 v75, v75, v78
	v_fma_f16 v9, v62, s28, v8
	v_add_f16_e32 v71, v71, v75
	v_sub_f16_e32 v34, v34, v37
	v_add_f16_e32 v14, v9, v30
	v_mul_f16_e32 v9, 0xbbc4, v65
	v_fma_f16 v8, v62, s28, -v8
	v_add_f16_e32 v67, v67, v71
	v_add_f16_e32 v11, v8, v15
	v_fma_f16 v8, v34, s27, v9
	v_add_f16_e32 v60, v31, v67
	v_add_f16_e32 v31, v8, v16
	v_mul_f16_e32 v8, 0x3770, v13
	v_fma_f16 v10, v34, s29, v9
	v_fma_f16 v9, v62, s19, v8
	v_add_f16_e32 v15, v9, v32
	v_mul_f16_e32 v9, 0x3b15, v65
	v_add_f16_e32 v37, v10, v33
	v_fma_f16 v10, v34, s18, v9
	v_fma_f16 v8, v62, s19, -v8
	v_add_f16_e32 v16, v10, v38
	v_add_f16_e32 v10, v8, v17
	v_fma_f16 v8, v34, s20, v9
	v_add_f16_e32 v33, v8, v18
	v_mul_f16_e32 v8, 0xb94e, v13
	v_fma_f16 v9, v62, s25, v8
	v_mul_f16_e32 v18, 0xb9fd, v65
	v_add_f16_e32 v17, v9, v41
	v_fma_f16 v9, v34, s26, v18
	v_fma_f16 v8, v62, s25, -v8
	v_add_f16_e32 v38, v9, v43
	v_add_f16_e32 v9, v8, v19
	v_fma_f16 v8, v34, s24, v18
	v_mul_f16_e32 v19, 0x388b, v65
	v_add_f16_e32 v32, v8, v42
	v_mul_f16_e32 v8, 0x3a95, v13
	v_fma_f16 v30, v34, s15, v19
	v_fma_f16 v19, v34, s17, v19
	;; [unrolled: 1-line block ×3, first 2 shown]
	v_add_f16_e32 v41, v30, v51
	v_fma_f16 v8, v62, s16, -v8
	v_add_f16_e32 v30, v19, v47
	v_mul_f16_e32 v19, 0xbb7b, v13
	v_mul_f16_e32 v13, 0x3bf1, v13
	v_add_f16_e32 v8, v8, v48
	v_fma_f16 v47, v62, s5, v13
	v_mul_f16_e32 v48, 0x2fb7, v65
	v_fma_f16 v13, v62, s5, -v13
	v_mul_f16_e32 v43, 0xb5ac, v65
	v_add_f16_e32 v12, v13, v12
	v_fma_f16 v13, v34, s14, v48
	v_add_f16_e32 v18, v18, v44
	v_fma_f16 v42, v62, s22, v19
	v_fma_f16 v44, v34, s23, v43
	v_add_f16_e32 v13, v13, v28
	v_pack_b32_f16 v28, v45, v46
	v_pack_b32_f16 v14, v14, v37
	v_add_f16_e32 v42, v42, v55
	v_add_f16_e32 v44, v44, v58
	v_fma_f16 v51, v34, s4, v48
	s_barrier
	ds_write2_b32 v52, v28, v14 offset1:17
	v_pack_b32_f16 v14, v15, v16
	v_pack_b32_f16 v15, v17, v38
	v_fma_f16 v19, v62, s22, -v19
	v_fma_f16 v43, v34, s21, v43
	v_add_f16_e32 v47, v47, v59
	v_add_f16_e32 v51, v51, v60
	ds_write2_b32 v52, v14, v15 offset0:34 offset1:51
	v_pack_b32_f16 v14, v18, v41
	v_pack_b32_f16 v15, v42, v44
	v_add_f16_e32 v19, v19, v57
	v_add_f16_e32 v43, v43, v56
	ds_write2_b32 v52, v14, v15 offset0:68 offset1:85
	v_pack_b32_f16 v14, v47, v51
	v_pack_b32_f16 v12, v12, v13
	ds_write2_b32 v52, v14, v12 offset0:102 offset1:119
	v_pack_b32_f16 v12, v19, v43
	v_pack_b32_f16 v13, v8, v30
	;; [unrolled: 3-line block ×3, first 2 shown]
	ds_write2_b32 v52, v12, v13 offset0:170 offset1:187
	v_pack_b32_f16 v12, v11, v31
	v_add_u32_e32 v34, 0x680, v49
	v_add_u32_e32 v37, 0xd80, v49
	v_add_u32_e32 v38, 0x1480, v49
	ds_write_b32 v52, v12 offset:816
	s_waitcnt lgkmcnt(0)
	s_barrier
	ds_read2_b32 v[12:13], v49 offset1:221
	ds_read2_b32 v[18:19], v34 offset0:26 offset1:247
	ds_read2_b32 v[16:17], v37 offset0:20 offset1:241
	;; [unrolled: 1-line block ×3, first 2 shown]
	ds_read_b32 v41, v49 offset:7072
	s_and_saveexec_b64 s[4:5], s[2:3]
	s_cbranch_execz .LBB0_19
; %bb.18:
	v_add_u32_e32 v8, 0x200, v49
	v_add_u32_e32 v10, 0x900, v49
	;; [unrolled: 1-line block ×3, first 2 shown]
	ds_read2_b32 v[8:9], v8 offset0:25 offset1:246
	ds_read2_b32 v[10:11], v10 offset0:19 offset1:240
	;; [unrolled: 1-line block ×4, first 2 shown]
	ds_read_b32 v53, v49 offset:7684
	s_waitcnt lgkmcnt(4)
	v_lshrrev_b32_e32 v30, 16, v8
	v_lshrrev_b32_e32 v32, 16, v9
	s_waitcnt lgkmcnt(3)
	v_lshrrev_b32_e32 v33, 16, v10
	v_lshrrev_b32_e32 v31, 16, v11
	;; [unrolled: 3-line block ×4, first 2 shown]
	s_waitcnt lgkmcnt(0)
	v_lshrrev_b32_e32 v54, 16, v53
.LBB0_19:
	s_or_b64 exec, exec, s[4:5]
	s_waitcnt lgkmcnt(4)
	v_lshrrev_b32_e32 v29, 16, v13
	v_mul_f16_sdwa v51, v20, v29 dst_sel:DWORD dst_unused:UNUSED_PAD src0_sel:WORD_1 src1_sel:DWORD
	s_waitcnt lgkmcnt(3)
	v_lshrrev_b32_e32 v42, 16, v18
	v_fma_f16 v51, v20, v13, v51
	v_mul_f16_sdwa v13, v20, v13 dst_sel:DWORD dst_unused:UNUSED_PAD src0_sel:WORD_1 src1_sel:DWORD
	v_fma_f16 v13, v20, v29, -v13
	v_mul_f16_sdwa v20, v21, v42 dst_sel:DWORD dst_unused:UNUSED_PAD src0_sel:WORD_1 src1_sel:DWORD
	v_lshrrev_b32_e32 v43, 16, v19
	v_fma_f16 v20, v21, v18, v20
	v_mul_f16_sdwa v18, v21, v18 dst_sel:DWORD dst_unused:UNUSED_PAD src0_sel:WORD_1 src1_sel:DWORD
	v_fma_f16 v18, v21, v42, -v18
	v_mul_f16_sdwa v21, v22, v43 dst_sel:DWORD dst_unused:UNUSED_PAD src0_sel:WORD_1 src1_sel:DWORD
	s_waitcnt lgkmcnt(2)
	v_lshrrev_b32_e32 v44, 16, v16
	v_fma_f16 v21, v22, v19, v21
	v_mul_f16_sdwa v19, v22, v19 dst_sel:DWORD dst_unused:UNUSED_PAD src0_sel:WORD_1 src1_sel:DWORD
	v_fma_f16 v19, v22, v43, -v19
	v_mul_f16_sdwa v22, v23, v44 dst_sel:DWORD dst_unused:UNUSED_PAD src0_sel:WORD_1 src1_sel:DWORD
	v_lshrrev_b32_e32 v45, 16, v17
	v_fma_f16 v22, v23, v16, v22
	v_mul_f16_sdwa v16, v23, v16 dst_sel:DWORD dst_unused:UNUSED_PAD src0_sel:WORD_1 src1_sel:DWORD
	v_fma_f16 v16, v23, v44, -v16
	;; [unrolled: 11-line block ×3, first 2 shown]
	v_mul_f16_sdwa v25, v26, v47 dst_sel:DWORD dst_unused:UNUSED_PAD src0_sel:WORD_1 src1_sel:DWORD
	s_waitcnt lgkmcnt(0)
	v_lshrrev_b32_e32 v48, 16, v41
	v_fma_f16 v25, v26, v15, v25
	v_mul_f16_sdwa v15, v26, v15 dst_sel:DWORD dst_unused:UNUSED_PAD src0_sel:WORD_1 src1_sel:DWORD
	v_fma_f16 v15, v26, v47, -v15
	v_mul_f16_sdwa v26, v27, v48 dst_sel:DWORD dst_unused:UNUSED_PAD src0_sel:WORD_1 src1_sel:DWORD
	v_mul_f16_sdwa v29, v27, v41 dst_sel:DWORD dst_unused:UNUSED_PAD src0_sel:WORD_1 src1_sel:DWORD
	v_fma_f16 v26, v27, v41, v26
	v_fma_f16 v27, v27, v48, -v29
	v_add_f16_e32 v41, v13, v27
	v_sub_f16_e32 v13, v13, v27
	v_add_f16_e32 v29, v51, v26
	v_add_f16_e32 v42, v20, v25
	;; [unrolled: 1-line block ×4, first 2 shown]
	v_sub_f16_e32 v26, v51, v26
	v_sub_f16_e32 v20, v20, v25
	;; [unrolled: 1-line block ×4, first 2 shown]
	v_mul_f16_e32 v21, 0x3924, v13
	s_movk_i32 s14, 0x3be1
	v_sub_f16_e32 v25, v16, v17
	v_add_f16_e32 v45, v19, v14
	v_sub_f16_e32 v14, v19, v14
	v_mul_f16_e32 v19, 0x3924, v26
	v_fma_f16 v21, v15, s14, v21
	s_movk_i32 s15, 0x3aee
	v_sub_f16_e32 v24, v22, v23
	v_mul_f16_e32 v52, 0xb924, v25
	v_fma_f16 v19, v20, s14, v19
	v_fma_f16 v21, v14, s15, v21
	s_movk_i32 s16, 0x3579
	v_mul_f16_e32 v51, 0xb924, v24
	v_fma_f16 v52, v13, s14, v52
	s_mov_b32 s20, 0xbaee
	v_fma_f16 v19, v18, s15, v19
	v_fma_f16 v21, v25, s16, v21
	s_mov_b32 s21, 0xb924
	v_fma_f16 v51, v26, s14, v51
	v_fma_f16 v52, v14, s20, v52
	v_add_f16_e32 v58, v25, v13
	v_mul_f16_e32 v25, 0x3be1, v25
	v_fma_f16 v19, v24, s16, v19
	v_fma_f16 v51, v18, s20, v51
	;; [unrolled: 1-line block ×3, first 2 shown]
	v_add_f16_e32 v57, v24, v26
	v_sub_f16_e32 v58, v58, v15
	v_mul_f16_e32 v24, 0x3be1, v24
	v_fma_f16 v15, v15, s21, -v25
	v_fma_f16 v51, v20, s16, v51
	v_sub_f16_e32 v57, v57, v20
	v_add_f16_e32 v67, v42, v29
	v_fma_f16 v20, v20, s21, -v24
	v_fma_f16 v14, v14, s15, v15
	v_add_f16_e32 v68, v43, v41
	v_fma_f16 v18, v18, s15, v20
	v_fma_f16 v13, v13, s16, v14
	v_add_f16_e32 v14, v44, v67
	v_fma_f16 v15, v26, s16, v18
	v_add_f16_e32 v18, v45, v68
	v_add_f16_e32 v14, v22, v14
	v_lshrrev_b32_e32 v28, 16, v12
	s_movk_i32 s17, 0x3a21
	v_add_f16_e32 v47, v22, v23
	v_add_f16_e32 v48, v16, v17
	;; [unrolled: 1-line block ×4, first 2 shown]
	v_fma_f16 v27, v29, s17, v12
	s_movk_i32 s18, 0x318f
	v_fma_f16 v55, v47, s17, v12
	v_add_f16_e32 v62, v44, v12
	v_add_f16_e32 v16, v17, v16
	;; [unrolled: 1-line block ×3, first 2 shown]
	v_fma_f16 v12, v42, s17, v12
	v_fma_f16 v17, v43, s17, v28
	;; [unrolled: 1-line block ×6, first 2 shown]
	s_mov_b32 s19, 0xbb84
	v_fma_f16 v55, v29, s18, v55
	v_fma_f16 v56, v41, s18, v56
	v_fma_f16 v12, v44, -0.5, v12
	v_fma_f16 v17, v45, -0.5, v17
	v_fma_f16 v27, v42, s18, v27
	v_fma_f16 v46, v43, s18, v46
	v_fma_f16 v55, v44, -0.5, v55
	v_fma_f16 v56, v45, -0.5, v56
	v_add_f16_e32 v65, v45, v28
	v_add_f16_e32 v69, v47, v67
	;; [unrolled: 1-line block ×3, first 2 shown]
	v_fma_f16 v12, v29, s19, v12
	v_fma_f16 v17, v41, s19, v17
	v_fma_f16 v27, v44, -0.5, v27
	v_fma_f16 v46, v45, -0.5, v46
	v_fma_f16 v55, v42, s19, v55
	v_fma_f16 v56, v43, s19, v56
	v_fma_f16 v62, v69, -0.5, v62
	v_fma_f16 v65, v70, -0.5, v65
	v_sub_f16_e32 v12, v12, v13
	v_add_f16_e32 v17, v15, v17
	v_fma_f16 v27, v47, s19, v27
	v_fma_f16 v46, v48, s19, v46
	v_sub_f16_e32 v55, v55, v52
	v_add_f16_e32 v56, v51, v56
	v_mul_f16_e32 v59, 0x3aee, v57
	v_mul_f16_e32 v60, 0x3aee, v58
	v_fma_f16 v58, v58, s20, v62
	v_fma_f16 v57, v57, s15, v65
	v_fma_f16 v13, v13, 2.0, v12
	v_fma_f16 v15, v15, -2.0, v17
	v_sub_f16_e32 v27, v27, v21
	v_add_f16_e32 v46, v19, v46
	v_fma_f16 v52, v52, 2.0, v55
	v_fma_f16 v51, v51, -2.0, v56
	v_fma_f16 v60, v60, 2.0, v58
	v_fma_f16 v59, v59, -2.0, v57
	v_add_f16_e32 v16, v16, v28
	v_pack_b32_f16 v12, v12, v17
	v_pack_b32_f16 v13, v13, v15
	v_fma_f16 v21, v21, 2.0, v27
	v_fma_f16 v19, v19, -2.0, v46
	v_pack_b32_f16 v14, v14, v16
	v_pack_b32_f16 v16, v27, v46
	ds_write2_b32 v37, v12, v13 offset0:20 offset1:241
	v_pack_b32_f16 v12, v60, v59
	v_pack_b32_f16 v13, v52, v51
	ds_write2_b32 v49, v14, v16 offset1:221
	v_pack_b32_f16 v14, v55, v56
	v_pack_b32_f16 v16, v58, v57
	ds_write2_b32 v38, v12, v13 offset0:14 offset1:235
	v_pack_b32_f16 v12, v21, v19
	ds_write2_b32 v34, v14, v16 offset0:26 offset1:247
	ds_write_b32 v49, v12 offset:7072
	s_and_saveexec_b64 s[4:5], s[2:3]
	s_cbranch_execz .LBB0_21
; %bb.20:
	v_mul_f16_sdwa v16, v5, v35 dst_sel:DWORD dst_unused:UNUSED_PAD src0_sel:WORD_1 src1_sel:DWORD
	v_mul_f16_sdwa v27, v5, v61 dst_sel:DWORD dst_unused:UNUSED_PAD src0_sel:WORD_1 src1_sel:DWORD
	;; [unrolled: 1-line block ×3, first 2 shown]
	v_fma_f16 v16, v5, v61, -v16
	v_fma_f16 v5, v5, v35, v27
	v_mul_f16_sdwa v27, v2, v31 dst_sel:DWORD dst_unused:UNUSED_PAD src0_sel:WORD_1 src1_sel:DWORD
	v_mul_f16_sdwa v13, v7, v53 dst_sel:DWORD dst_unused:UNUSED_PAD src0_sel:WORD_1 src1_sel:DWORD
	v_fma_f16 v15, v2, v31, -v15
	v_fma_f16 v2, v2, v11, v27
	v_mul_f16_sdwa v27, v7, v54 dst_sel:DWORD dst_unused:UNUSED_PAD src0_sel:WORD_1 src1_sel:DWORD
	v_mul_f16_sdwa v12, v0, v9 dst_sel:DWORD dst_unused:UNUSED_PAD src0_sel:WORD_1 src1_sel:DWORD
	v_fma_f16 v13, v7, v54, -v13
	v_mul_f16_sdwa v18, v1, v10 dst_sel:DWORD dst_unused:UNUSED_PAD src0_sel:WORD_1 src1_sel:DWORD
	v_mul_f16_sdwa v19, v6, v36 dst_sel:DWORD dst_unused:UNUSED_PAD src0_sel:WORD_1 src1_sel:DWORD
	v_fma_f16 v7, v7, v53, v27
	v_mul_f16_sdwa v27, v0, v32 dst_sel:DWORD dst_unused:UNUSED_PAD src0_sel:WORD_1 src1_sel:DWORD
	v_fma_f16 v12, v0, v32, -v12
	v_fma_f16 v18, v1, v33, -v18
	;; [unrolled: 1-line block ×3, first 2 shown]
	v_mul_f16_sdwa v21, v3, v39 dst_sel:DWORD dst_unused:UNUSED_PAD src0_sel:WORD_1 src1_sel:DWORD
	v_mul_f16_sdwa v22, v4, v40 dst_sel:DWORD dst_unused:UNUSED_PAD src0_sel:WORD_1 src1_sel:DWORD
	v_fma_f16 v0, v0, v9, v27
	v_fma_f16 v21, v3, v66, -v21
	v_fma_f16 v22, v4, v64, -v22
	v_add_f16_e32 v9, v7, v0
	v_sub_f16_e32 v0, v0, v7
	v_add_f16_e32 v7, v19, v18
	v_sub_f16_e32 v20, v18, v19
	v_fma_f16 v18, v7, s17, v30
	v_add_f16_e32 v19, v22, v21
	v_sub_f16_e32 v17, v15, v16
	v_mul_f16_sdwa v25, v6, v63 dst_sel:DWORD dst_unused:UNUSED_PAD src0_sel:WORD_1 src1_sel:DWORD
	v_fma_f16 v18, v19, s18, v18
	v_add_f16_e32 v15, v16, v15
	v_sub_f16_e32 v14, v12, v13
	v_fma_f16 v6, v6, v36, v25
	v_mul_f16_sdwa v25, v1, v33 dst_sel:DWORD dst_unused:UNUSED_PAD src0_sel:WORD_1 src1_sel:DWORD
	v_fma_f16 v16, v15, -0.5, v18
	v_add_f16_e32 v12, v13, v12
	v_fma_f16 v1, v1, v10, v25
	v_fma_f16 v13, v12, s19, v16
	v_add_f16_e32 v16, v7, v12
	v_add_f16_e32 v10, v6, v1
	v_mul_f16_sdwa v26, v4, v64 dst_sel:DWORD dst_unused:UNUSED_PAD src0_sel:WORD_1 src1_sel:DWORD
	v_add_f16_e32 v18, v15, v16
	v_sub_f16_e32 v23, v21, v22
	v_fma_f16 v4, v4, v40, v26
	v_mul_f16_sdwa v26, v3, v66 dst_sel:DWORD dst_unused:UNUSED_PAD src0_sel:WORD_1 src1_sel:DWORD
	v_add_f16_e32 v11, v5, v2
	v_add_f16_e32 v18, v21, v18
	;; [unrolled: 1-line block ×3, first 2 shown]
	v_fma_f16 v3, v3, v39, v26
	v_add_f16_e32 v18, v22, v18
	v_add_f16_e32 v22, v11, v21
	;; [unrolled: 1-line block ×3, first 2 shown]
	v_sub_f16_e32 v2, v2, v5
	v_sub_f16_e32 v5, v3, v4
	v_add_f16_e32 v3, v3, v22
	v_add_f16_e32 v3, v4, v3
	;; [unrolled: 1-line block ×4, first 2 shown]
	v_fma_f16 v4, v21, -0.5, v4
	v_add_f16_e32 v21, v23, v14
	v_sub_f16_e32 v1, v1, v6
	v_mul_f16_e32 v6, 0x3be1, v5
	v_sub_f16_e32 v21, v21, v20
	v_fma_f16 v25, v10, s17, v8
	v_fma_f16 v6, v1, s21, -v6
	v_mul_f16_e32 v22, 0x3aee, v21
	v_fma_f16 v4, v21, s20, v4
	v_mul_f16_e32 v29, 0xb924, v5
	v_fma_f16 v25, v26, s18, v25
	v_fma_f16 v6, v2, s15, v6
	v_fma_f16 v21, v22, 2.0, v4
	v_add_f16_e32 v22, v5, v0
	v_add_f16_e32 v28, v15, v30
	;; [unrolled: 1-line block ×3, first 2 shown]
	v_fma_f16 v29, v0, s14, v29
	v_fma_f16 v25, v11, -0.5, v25
	v_fma_f16 v6, v0, s16, v6
	v_sub_f16_e32 v22, v22, v1
	v_fma_f16 v16, v16, -0.5, v28
	v_fma_f16 v28, v26, s17, v8
	v_fma_f16 v29, v2, s20, v29
	v_mul_f16_e32 v0, 0x3924, v0
	v_fma_f16 v25, v9, s19, v25
	v_add_f16_e32 v3, v8, v3
	v_mul_f16_e32 v27, 0x3aee, v22
	v_fma_f16 v16, v22, s15, v16
	v_fma_f16 v28, v9, s18, v28
	;; [unrolled: 1-line block ×4, first 2 shown]
	v_mul_f16_e32 v9, 0x3924, v14
	v_fma_f16 v0, v1, s14, v0
	v_fma_f16 v1, v12, s17, v30
	v_mul_f16_e32 v24, 0x3be1, v23
	v_fma_f16 v22, v27, -2.0, v16
	v_mul_f16_e32 v27, 0xb924, v23
	v_fma_f16 v31, v19, s17, v30
	v_fma_f16 v8, v10, s18, v8
	;; [unrolled: 1-line block ×4, first 2 shown]
	v_fma_f16 v24, v20, s21, -v24
	v_fma_f16 v27, v14, s14, v27
	v_fma_f16 v31, v12, s18, v31
	v_fma_f16 v8, v11, -0.5, v8
	v_fma_f16 v9, v17, s15, v9
	v_fma_f16 v0, v2, s15, v0
	v_fma_f16 v1, v15, -0.5, v1
	;; [unrolled: 3-line block ×3, first 2 shown]
	v_fma_f16 v31, v15, -0.5, v31
	v_fma_f16 v8, v26, s19, v8
	v_fma_f16 v9, v23, s16, v9
	;; [unrolled: 1-line block ×5, first 2 shown]
	v_add_f16_e32 v18, v30, v18
	v_fma_f16 v27, v20, s16, v27
	v_fma_f16 v28, v10, s19, v28
	v_fma_f16 v31, v7, s19, v31
	v_sub_f16_e32 v8, v8, v9
	v_add_f16_e32 v1, v0, v1
	v_sub_f16_e32 v25, v25, v24
	v_add_f16_e32 v13, v6, v13
	;; [unrolled: 2-line block ×3, first 2 shown]
	v_fma_f16 v0, v0, -2.0, v1
	v_pack_b32_f16 v2, v3, v18
	v_pack_b32_f16 v1, v8, v1
	v_add_u32_e32 v3, 0x200, v49
	v_fma_f16 v24, v24, 2.0, v25
	v_fma_f16 v6, v6, -2.0, v13
	ds_write2_b32 v3, v2, v1 offset0:25 offset1:246
	v_pack_b32_f16 v1, v28, v31
	v_pack_b32_f16 v2, v4, v16
	v_add_u32_e32 v3, 0x900, v49
	v_fma_f16 v27, v27, 2.0, v28
	v_fma_f16 v29, v29, -2.0, v31
	v_fma_f16 v9, v9, 2.0, v8
	ds_write2_b32 v3, v1, v2 offset0:19 offset1:240
	v_pack_b32_f16 v1, v25, v13
	v_pack_b32_f16 v2, v24, v6
	v_add_u32_e32 v3, 0x1000, v49
	ds_write2_b32 v3, v1, v2 offset0:13 offset1:234
	v_pack_b32_f16 v1, v21, v22
	v_pack_b32_f16 v2, v27, v29
	v_add_u32_e32 v3, 0x1700, v49
	v_pack_b32_f16 v0, v9, v0
	ds_write2_b32 v3, v1, v2 offset0:7 offset1:228
	ds_write_b32 v49, v0 offset:7684
.LBB0_21:
	s_or_b64 exec, exec, s[4:5]
	s_waitcnt lgkmcnt(0)
	s_barrier
	s_and_b64 exec, exec, s[0:1]
	s_cbranch_execz .LBB0_23
; %bb.22:
	global_load_dword v8, v49, s[6:7]
	ds_read_b32 v9, v49
	v_mad_u64_u32 v[0:1], s[0:1], s10, v176, 0
	v_mov_b32_e32 v2, 0x7c00
	v_mad_u64_u32 v[3:4], s[0:1], s8, v192, 0
	v_mad_u64_u32 v[5:6], s[0:1], s11, v176, v[1:2]
	s_mov_b32 s14, 0x10798010
	s_mov_b32 s15, 0x3f407980
	v_mad_u64_u32 v[6:7], s[0:1], s9, v192, v[4:5]
	s_waitcnt lgkmcnt(0)
	v_lshrrev_b32_e32 v7, 16, v9
	v_mov_b32_e32 v1, v5
	v_mov_b32_e32 v4, v6
	v_lshlrev_b64 v[0:1], 2, v[0:1]
	v_mov_b32_e32 v10, s13
	v_lshlrev_b64 v[3:4], 2, v[3:4]
	s_movk_i32 s16, 0x1ff
	s_movk_i32 s10, 0xffe
	s_movk_i32 s18, 0x40f
	s_mov_b32 s17, 0x8000
	s_waitcnt vmcnt(0)
	v_mul_f16_sdwa v5, v7, v8 dst_sel:DWORD dst_unused:UNUSED_PAD src0_sel:DWORD src1_sel:WORD_1
	v_fma_f16 v5, v9, v8, v5
	v_mul_f16_sdwa v6, v9, v8 dst_sel:DWORD dst_unused:UNUSED_PAD src0_sel:DWORD src1_sel:WORD_1
	v_cvt_f32_f16_e32 v5, v5
	v_fma_f16 v6, v8, v7, -v6
	v_cvt_f32_f16_e32 v7, v6
	v_add_co_u32_e32 v9, vcc, s12, v0
	v_cvt_f64_f32_e32 v[5:6], v5
	v_cvt_f64_f32_e32 v[7:8], v7
	v_addc_co_u32_e32 v10, vcc, v10, v1, vcc
	v_mul_f64 v[5:6], v[5:6], s[14:15]
	v_mul_f64 v[0:1], v[7:8], s[14:15]
	v_add_co_u32_e32 v3, vcc, v9, v3
	v_addc_co_u32_e32 v4, vcc, v10, v4, vcc
	v_and_or_b32 v5, v6, s16, v5
	v_and_or_b32 v0, v1, s16, v0
	v_cmp_ne_u32_e32 vcc, 0, v5
	v_lshrrev_b32_e32 v7, 8, v6
	v_bfe_u32 v8, v6, 20, 11
	v_cndmask_b32_e64 v5, 0, 1, vcc
	v_cmp_ne_u32_e32 vcc, 0, v0
	v_lshrrev_b32_e32 v9, 8, v1
	v_bfe_u32 v10, v1, 20, 11
	v_sub_u32_e32 v11, 0x3f1, v8
	v_cndmask_b32_e64 v0, 0, 1, vcc
	v_and_or_b32 v5, v7, s10, v5
	v_sub_u32_e32 v12, 0x3f1, v10
	v_med3_i32 v7, v11, 0, 13
	v_and_or_b32 v0, v9, s10, v0
	v_or_b32_e32 v11, 0x1000, v5
	v_add_u32_e32 v8, 0xfffffc10, v8
	v_med3_i32 v9, v12, 0, 13
	v_cmp_ne_u32_e32 vcc, 0, v5
	v_or_b32_e32 v13, 0x1000, v0
	v_lshrrev_b32_e32 v15, v7, v11
	v_add_u32_e32 v10, 0xfffffc10, v10
	v_lshl_or_b32 v12, v8, 12, v5
	v_cndmask_b32_e64 v5, 0, 1, vcc
	v_cmp_ne_u32_e32 vcc, 0, v0
	v_lshrrev_b32_e32 v16, v9, v13
	v_lshlrev_b32_e32 v7, v7, v15
	v_lshl_or_b32 v14, v10, 12, v0
	v_cndmask_b32_e64 v0, 0, 1, vcc
	v_lshlrev_b32_e32 v9, v9, v16
	v_cmp_ne_u32_e32 vcc, v7, v11
	v_cndmask_b32_e64 v7, 0, 1, vcc
	v_cmp_ne_u32_e32 vcc, v9, v13
	v_cndmask_b32_e64 v9, 0, 1, vcc
	v_or_b32_e32 v7, v15, v7
	v_cmp_gt_i32_e32 vcc, 1, v8
	v_cndmask_b32_e32 v7, v12, v7, vcc
	v_or_b32_e32 v9, v16, v9
	v_cmp_gt_i32_e32 vcc, 1, v10
	v_and_b32_e32 v11, 7, v7
	v_cndmask_b32_e32 v9, v14, v9, vcc
	v_cmp_lt_i32_e32 vcc, 5, v11
	v_cmp_eq_u32_e64 s[0:1], 3, v11
	v_lshrrev_b32_e32 v7, 2, v7
	v_and_b32_e32 v12, 7, v9
	s_or_b64 vcc, s[0:1], vcc
	v_cmp_lt_i32_e64 s[2:3], 5, v12
	v_cmp_eq_u32_e64 s[4:5], 3, v12
	v_addc_co_u32_e32 v7, vcc, 0, v7, vcc
	v_lshrrev_b32_e32 v9, 2, v9
	s_or_b64 vcc, s[4:5], s[2:3]
	v_addc_co_u32_e32 v9, vcc, 0, v9, vcc
	v_cmp_gt_i32_e32 vcc, 31, v8
	v_cndmask_b32_e32 v7, v2, v7, vcc
	v_cmp_gt_i32_e32 vcc, 31, v10
	v_lshl_or_b32 v5, v5, 9, v2
	v_cndmask_b32_e32 v9, v2, v9, vcc
	v_cmp_eq_u32_e32 vcc, s18, v8
	v_lshrrev_b32_e32 v6, 16, v6
	v_lshl_or_b32 v0, v0, 9, v2
	v_cndmask_b32_e32 v5, v7, v5, vcc
	v_cmp_eq_u32_e32 vcc, s18, v10
	v_lshrrev_b32_e32 v1, 16, v1
	v_cndmask_b32_e32 v0, v9, v0, vcc
	v_and_or_b32 v5, v6, s17, v5
	v_and_or_b32 v0, v1, s17, v0
	v_and_b32_e32 v1, 0xffff, v5
	v_lshl_or_b32 v0, v0, 16, v1
	global_store_dword v[3:4], v0, off
	global_load_dword v5, v49, s[6:7] offset:468
	ds_read2_b32 v[0:1], v49 offset0:117 offset1:234
	s_mul_i32 s0, s9, 0x1d4
	s_mul_hi_u32 s9, s8, 0x1d4
	s_mulk_i32 s8, 0x1d4
	s_add_i32 s9, s9, s0
	s_waitcnt lgkmcnt(0)
	v_lshrrev_b32_e32 v6, 16, v0
	v_add_co_u32_e32 v3, vcc, s8, v3
	s_waitcnt vmcnt(0)
	v_mul_f16_sdwa v7, v6, v5 dst_sel:DWORD dst_unused:UNUSED_PAD src0_sel:DWORD src1_sel:WORD_1
	v_fma_f16 v7, v0, v5, v7
	v_mul_f16_sdwa v0, v0, v5 dst_sel:DWORD dst_unused:UNUSED_PAD src0_sel:DWORD src1_sel:WORD_1
	v_cvt_f32_f16_e32 v7, v7
	v_fma_f16 v0, v5, v6, -v0
	v_cvt_f32_f16_e32 v0, v0
	v_cvt_f64_f32_e32 v[5:6], v7
	v_cvt_f64_f32_e32 v[7:8], v0
	v_mov_b32_e32 v0, s9
	v_mul_f64 v[5:6], v[5:6], s[14:15]
	v_addc_co_u32_e32 v4, vcc, v4, v0, vcc
	v_mul_f64 v[7:8], v[7:8], s[14:15]
	v_and_or_b32 v0, v6, s16, v5
	v_cmp_ne_u32_e32 vcc, 0, v0
	v_lshrrev_b32_e32 v5, 8, v6
	v_and_or_b32 v7, v8, s16, v7
	v_bfe_u32 v9, v6, 20, 11
	v_cndmask_b32_e64 v0, 0, 1, vcc
	v_cmp_ne_u32_e32 vcc, 0, v7
	v_lshrrev_b32_e32 v10, 8, v8
	v_bfe_u32 v11, v8, 20, 11
	v_sub_u32_e32 v12, 0x3f1, v9
	v_cndmask_b32_e64 v7, 0, 1, vcc
	v_and_or_b32 v0, v5, s10, v0
	v_sub_u32_e32 v13, 0x3f1, v11
	v_med3_i32 v5, v12, 0, 13
	v_and_or_b32 v7, v10, s10, v7
	v_or_b32_e32 v12, 0x1000, v0
	v_add_u32_e32 v9, 0xfffffc10, v9
	v_med3_i32 v10, v13, 0, 13
	v_cmp_ne_u32_e32 vcc, 0, v0
	v_or_b32_e32 v14, 0x1000, v7
	v_lshrrev_b32_e32 v16, v5, v12
	v_add_u32_e32 v11, 0xfffffc10, v11
	v_lshl_or_b32 v13, v9, 12, v0
	v_cndmask_b32_e64 v0, 0, 1, vcc
	v_cmp_ne_u32_e32 vcc, 0, v7
	v_lshrrev_b32_e32 v17, v10, v14
	v_lshlrev_b32_e32 v5, v5, v16
	v_lshl_or_b32 v15, v11, 12, v7
	v_cndmask_b32_e64 v7, 0, 1, vcc
	v_lshlrev_b32_e32 v10, v10, v17
	v_cmp_ne_u32_e32 vcc, v5, v12
	v_cndmask_b32_e64 v5, 0, 1, vcc
	v_cmp_ne_u32_e32 vcc, v10, v14
	v_cndmask_b32_e64 v10, 0, 1, vcc
	v_or_b32_e32 v5, v16, v5
	v_cmp_gt_i32_e32 vcc, 1, v9
	v_cndmask_b32_e32 v5, v13, v5, vcc
	v_or_b32_e32 v10, v17, v10
	v_cmp_gt_i32_e32 vcc, 1, v11
	v_and_b32_e32 v12, 7, v5
	v_cndmask_b32_e32 v10, v15, v10, vcc
	v_cmp_lt_i32_e32 vcc, 5, v12
	v_cmp_eq_u32_e64 s[0:1], 3, v12
	v_lshrrev_b32_e32 v5, 2, v5
	v_and_b32_e32 v13, 7, v10
	s_or_b64 vcc, s[0:1], vcc
	v_cmp_lt_i32_e64 s[2:3], 5, v13
	v_cmp_eq_u32_e64 s[4:5], 3, v13
	v_addc_co_u32_e32 v5, vcc, 0, v5, vcc
	v_lshrrev_b32_e32 v10, 2, v10
	s_or_b64 vcc, s[4:5], s[2:3]
	v_addc_co_u32_e32 v10, vcc, 0, v10, vcc
	v_cmp_gt_i32_e32 vcc, 31, v9
	v_cndmask_b32_e32 v5, v2, v5, vcc
	v_cmp_gt_i32_e32 vcc, 31, v11
	v_lshl_or_b32 v0, v0, 9, v2
	v_cndmask_b32_e32 v10, v2, v10, vcc
	v_cmp_eq_u32_e32 vcc, s18, v9
	v_lshrrev_b32_e32 v6, 16, v6
	v_lshl_or_b32 v7, v7, 9, v2
	v_cndmask_b32_e32 v0, v5, v0, vcc
	v_cmp_eq_u32_e32 vcc, s18, v11
	v_lshrrev_b32_e32 v8, 16, v8
	v_cndmask_b32_e32 v5, v10, v7, vcc
	v_and_or_b32 v0, v6, s17, v0
	v_and_or_b32 v5, v8, s17, v5
	v_and_b32_e32 v0, 0xffff, v0
	v_lshl_or_b32 v0, v5, 16, v0
	global_store_dword v[3:4], v0, off
	global_load_dword v0, v49, s[6:7] offset:936
	v_lshrrev_b32_e32 v5, 16, v1
	v_mov_b32_e32 v7, s9
	v_add_co_u32_e32 v3, vcc, s8, v3
	v_addc_co_u32_e32 v4, vcc, v4, v7, vcc
	s_waitcnt vmcnt(0)
	v_mul_f16_sdwa v6, v5, v0 dst_sel:DWORD dst_unused:UNUSED_PAD src0_sel:DWORD src1_sel:WORD_1
	v_fma_f16 v6, v1, v0, v6
	v_mul_f16_sdwa v1, v1, v0 dst_sel:DWORD dst_unused:UNUSED_PAD src0_sel:DWORD src1_sel:WORD_1
	v_cvt_f32_f16_e32 v6, v6
	v_fma_f16 v0, v0, v5, -v1
	v_cvt_f32_f16_e32 v5, v0
	v_cvt_f64_f32_e32 v[0:1], v6
	v_cvt_f64_f32_e32 v[5:6], v5
	v_mul_f64 v[0:1], v[0:1], s[14:15]
	v_mul_f64 v[5:6], v[5:6], s[14:15]
	v_and_or_b32 v0, v1, s16, v0
	v_cmp_ne_u32_e32 vcc, 0, v0
	v_and_or_b32 v5, v6, s16, v5
	v_lshrrev_b32_e32 v7, 8, v1
	v_bfe_u32 v8, v1, 20, 11
	v_cndmask_b32_e64 v0, 0, 1, vcc
	v_cmp_ne_u32_e32 vcc, 0, v5
	v_lshrrev_b32_e32 v9, 8, v6
	v_bfe_u32 v10, v6, 20, 11
	v_sub_u32_e32 v11, 0x3f1, v8
	v_cndmask_b32_e64 v5, 0, 1, vcc
	v_and_or_b32 v0, v7, s10, v0
	v_sub_u32_e32 v12, 0x3f1, v10
	v_med3_i32 v7, v11, 0, 13
	v_and_or_b32 v5, v9, s10, v5
	v_or_b32_e32 v11, 0x1000, v0
	v_add_u32_e32 v8, 0xfffffc10, v8
	v_med3_i32 v9, v12, 0, 13
	v_cmp_ne_u32_e32 vcc, 0, v0
	v_or_b32_e32 v13, 0x1000, v5
	v_lshrrev_b32_e32 v15, v7, v11
	v_add_u32_e32 v10, 0xfffffc10, v10
	v_lshl_or_b32 v12, v8, 12, v0
	v_cndmask_b32_e64 v0, 0, 1, vcc
	v_cmp_ne_u32_e32 vcc, 0, v5
	v_lshrrev_b32_e32 v16, v9, v13
	v_lshlrev_b32_e32 v7, v7, v15
	v_lshl_or_b32 v14, v10, 12, v5
	v_cndmask_b32_e64 v5, 0, 1, vcc
	v_lshlrev_b32_e32 v9, v9, v16
	v_cmp_ne_u32_e32 vcc, v7, v11
	v_cndmask_b32_e64 v7, 0, 1, vcc
	v_cmp_ne_u32_e32 vcc, v9, v13
	v_cndmask_b32_e64 v9, 0, 1, vcc
	v_or_b32_e32 v7, v15, v7
	v_cmp_gt_i32_e32 vcc, 1, v8
	v_cndmask_b32_e32 v7, v12, v7, vcc
	v_or_b32_e32 v9, v16, v9
	v_cmp_gt_i32_e32 vcc, 1, v10
	v_and_b32_e32 v11, 7, v7
	v_cndmask_b32_e32 v9, v14, v9, vcc
	v_cmp_lt_i32_e32 vcc, 5, v11
	v_cmp_eq_u32_e64 s[0:1], 3, v11
	v_lshrrev_b32_e32 v7, 2, v7
	v_and_b32_e32 v12, 7, v9
	s_or_b64 vcc, s[0:1], vcc
	v_cmp_lt_i32_e64 s[2:3], 5, v12
	v_cmp_eq_u32_e64 s[4:5], 3, v12
	v_addc_co_u32_e32 v7, vcc, 0, v7, vcc
	v_lshrrev_b32_e32 v9, 2, v9
	s_or_b64 vcc, s[4:5], s[2:3]
	v_addc_co_u32_e32 v9, vcc, 0, v9, vcc
	v_cmp_gt_i32_e32 vcc, 31, v8
	v_cndmask_b32_e32 v7, v2, v7, vcc
	v_cmp_gt_i32_e32 vcc, 31, v10
	v_lshl_or_b32 v0, v0, 9, v2
	v_cndmask_b32_e32 v9, v2, v9, vcc
	v_cmp_eq_u32_e32 vcc, s18, v8
	v_lshrrev_b32_e32 v1, 16, v1
	v_lshl_or_b32 v5, v5, 9, v2
	v_cndmask_b32_e32 v0, v7, v0, vcc
	v_cmp_eq_u32_e32 vcc, s18, v10
	v_lshrrev_b32_e32 v6, 16, v6
	v_cndmask_b32_e32 v5, v9, v5, vcc
	v_and_or_b32 v0, v1, s17, v0
	v_and_or_b32 v1, v6, s17, v5
	v_and_b32_e32 v0, 0xffff, v0
	v_lshl_or_b32 v0, v1, 16, v0
	global_store_dword v[3:4], v0, off
	global_load_dword v5, v49, s[6:7] offset:1404
	v_add_u32_e32 v0, 0x400, v49
	ds_read2_b32 v[0:1], v0 offset0:95 offset1:212
	v_add_co_u32_e32 v3, vcc, s8, v3
	s_waitcnt lgkmcnt(0)
	v_lshrrev_b32_e32 v6, 16, v0
	s_waitcnt vmcnt(0)
	v_mul_f16_sdwa v7, v6, v5 dst_sel:DWORD dst_unused:UNUSED_PAD src0_sel:DWORD src1_sel:WORD_1
	v_fma_f16 v7, v0, v5, v7
	v_mul_f16_sdwa v0, v0, v5 dst_sel:DWORD dst_unused:UNUSED_PAD src0_sel:DWORD src1_sel:WORD_1
	v_cvt_f32_f16_e32 v7, v7
	v_fma_f16 v0, v5, v6, -v0
	v_cvt_f32_f16_e32 v0, v0
	v_cvt_f64_f32_e32 v[5:6], v7
	v_cvt_f64_f32_e32 v[7:8], v0
	v_mov_b32_e32 v0, s9
	v_mul_f64 v[5:6], v[5:6], s[14:15]
	v_addc_co_u32_e32 v4, vcc, v4, v0, vcc
	v_mul_f64 v[7:8], v[7:8], s[14:15]
	v_and_or_b32 v0, v6, s16, v5
	v_cmp_ne_u32_e32 vcc, 0, v0
	v_lshrrev_b32_e32 v5, 8, v6
	v_and_or_b32 v7, v8, s16, v7
	v_bfe_u32 v9, v6, 20, 11
	v_cndmask_b32_e64 v0, 0, 1, vcc
	v_cmp_ne_u32_e32 vcc, 0, v7
	v_lshrrev_b32_e32 v10, 8, v8
	v_bfe_u32 v11, v8, 20, 11
	v_sub_u32_e32 v12, 0x3f1, v9
	v_cndmask_b32_e64 v7, 0, 1, vcc
	v_and_or_b32 v0, v5, s10, v0
	v_sub_u32_e32 v13, 0x3f1, v11
	v_med3_i32 v5, v12, 0, 13
	v_and_or_b32 v7, v10, s10, v7
	v_or_b32_e32 v12, 0x1000, v0
	v_add_u32_e32 v9, 0xfffffc10, v9
	v_med3_i32 v10, v13, 0, 13
	v_cmp_ne_u32_e32 vcc, 0, v0
	v_or_b32_e32 v14, 0x1000, v7
	v_lshrrev_b32_e32 v16, v5, v12
	v_add_u32_e32 v11, 0xfffffc10, v11
	v_lshl_or_b32 v13, v9, 12, v0
	v_cndmask_b32_e64 v0, 0, 1, vcc
	v_cmp_ne_u32_e32 vcc, 0, v7
	v_lshrrev_b32_e32 v17, v10, v14
	v_lshlrev_b32_e32 v5, v5, v16
	v_lshl_or_b32 v15, v11, 12, v7
	v_cndmask_b32_e64 v7, 0, 1, vcc
	v_lshlrev_b32_e32 v10, v10, v17
	v_cmp_ne_u32_e32 vcc, v5, v12
	v_cndmask_b32_e64 v5, 0, 1, vcc
	v_cmp_ne_u32_e32 vcc, v10, v14
	v_cndmask_b32_e64 v10, 0, 1, vcc
	v_or_b32_e32 v5, v16, v5
	v_cmp_gt_i32_e32 vcc, 1, v9
	v_cndmask_b32_e32 v5, v13, v5, vcc
	v_or_b32_e32 v10, v17, v10
	v_cmp_gt_i32_e32 vcc, 1, v11
	v_and_b32_e32 v12, 7, v5
	v_cndmask_b32_e32 v10, v15, v10, vcc
	v_cmp_lt_i32_e32 vcc, 5, v12
	v_cmp_eq_u32_e64 s[0:1], 3, v12
	v_lshrrev_b32_e32 v5, 2, v5
	v_and_b32_e32 v13, 7, v10
	s_or_b64 vcc, s[0:1], vcc
	v_cmp_lt_i32_e64 s[2:3], 5, v13
	v_cmp_eq_u32_e64 s[4:5], 3, v13
	v_addc_co_u32_e32 v5, vcc, 0, v5, vcc
	v_lshrrev_b32_e32 v10, 2, v10
	s_or_b64 vcc, s[4:5], s[2:3]
	v_addc_co_u32_e32 v10, vcc, 0, v10, vcc
	v_cmp_gt_i32_e32 vcc, 31, v9
	v_cndmask_b32_e32 v5, v2, v5, vcc
	v_cmp_gt_i32_e32 vcc, 31, v11
	v_lshl_or_b32 v0, v0, 9, v2
	v_cndmask_b32_e32 v10, v2, v10, vcc
	v_cmp_eq_u32_e32 vcc, s18, v9
	v_lshrrev_b32_e32 v6, 16, v6
	v_lshl_or_b32 v7, v7, 9, v2
	v_cndmask_b32_e32 v0, v5, v0, vcc
	v_cmp_eq_u32_e32 vcc, s18, v11
	v_lshrrev_b32_e32 v8, 16, v8
	v_cndmask_b32_e32 v5, v10, v7, vcc
	v_and_or_b32 v0, v6, s17, v0
	v_and_or_b32 v5, v8, s17, v5
	v_and_b32_e32 v0, 0xffff, v0
	v_lshl_or_b32 v0, v5, 16, v0
	global_store_dword v[3:4], v0, off
	global_load_dword v0, v49, s[6:7] offset:1872
	v_lshrrev_b32_e32 v5, 16, v1
	v_mov_b32_e32 v7, s9
	v_add_co_u32_e32 v3, vcc, s8, v3
	v_addc_co_u32_e32 v4, vcc, v4, v7, vcc
	s_waitcnt vmcnt(0)
	v_mul_f16_sdwa v6, v5, v0 dst_sel:DWORD dst_unused:UNUSED_PAD src0_sel:DWORD src1_sel:WORD_1
	v_fma_f16 v6, v1, v0, v6
	v_mul_f16_sdwa v1, v1, v0 dst_sel:DWORD dst_unused:UNUSED_PAD src0_sel:DWORD src1_sel:WORD_1
	v_cvt_f32_f16_e32 v6, v6
	v_fma_f16 v0, v0, v5, -v1
	v_cvt_f32_f16_e32 v5, v0
	v_cvt_f64_f32_e32 v[0:1], v6
	v_cvt_f64_f32_e32 v[5:6], v5
	v_mul_f64 v[0:1], v[0:1], s[14:15]
	v_mul_f64 v[5:6], v[5:6], s[14:15]
	v_and_or_b32 v0, v1, s16, v0
	v_cmp_ne_u32_e32 vcc, 0, v0
	v_and_or_b32 v5, v6, s16, v5
	v_lshrrev_b32_e32 v7, 8, v1
	v_bfe_u32 v8, v1, 20, 11
	v_cndmask_b32_e64 v0, 0, 1, vcc
	v_cmp_ne_u32_e32 vcc, 0, v5
	v_lshrrev_b32_e32 v9, 8, v6
	v_bfe_u32 v10, v6, 20, 11
	v_sub_u32_e32 v11, 0x3f1, v8
	v_cndmask_b32_e64 v5, 0, 1, vcc
	v_and_or_b32 v0, v7, s10, v0
	v_sub_u32_e32 v12, 0x3f1, v10
	v_med3_i32 v7, v11, 0, 13
	v_and_or_b32 v5, v9, s10, v5
	v_or_b32_e32 v11, 0x1000, v0
	v_add_u32_e32 v8, 0xfffffc10, v8
	v_med3_i32 v9, v12, 0, 13
	v_cmp_ne_u32_e32 vcc, 0, v0
	v_or_b32_e32 v13, 0x1000, v5
	v_lshrrev_b32_e32 v15, v7, v11
	v_add_u32_e32 v10, 0xfffffc10, v10
	v_lshl_or_b32 v12, v8, 12, v0
	v_cndmask_b32_e64 v0, 0, 1, vcc
	v_cmp_ne_u32_e32 vcc, 0, v5
	v_lshrrev_b32_e32 v16, v9, v13
	v_lshlrev_b32_e32 v7, v7, v15
	v_lshl_or_b32 v14, v10, 12, v5
	v_cndmask_b32_e64 v5, 0, 1, vcc
	v_lshlrev_b32_e32 v9, v9, v16
	v_cmp_ne_u32_e32 vcc, v7, v11
	v_cndmask_b32_e64 v7, 0, 1, vcc
	v_cmp_ne_u32_e32 vcc, v9, v13
	v_cndmask_b32_e64 v9, 0, 1, vcc
	v_or_b32_e32 v7, v15, v7
	v_cmp_gt_i32_e32 vcc, 1, v8
	v_cndmask_b32_e32 v7, v12, v7, vcc
	v_or_b32_e32 v9, v16, v9
	v_cmp_gt_i32_e32 vcc, 1, v10
	v_and_b32_e32 v11, 7, v7
	v_cndmask_b32_e32 v9, v14, v9, vcc
	v_cmp_lt_i32_e32 vcc, 5, v11
	v_cmp_eq_u32_e64 s[0:1], 3, v11
	v_lshrrev_b32_e32 v7, 2, v7
	v_and_b32_e32 v12, 7, v9
	s_or_b64 vcc, s[0:1], vcc
	v_cmp_lt_i32_e64 s[2:3], 5, v12
	v_cmp_eq_u32_e64 s[4:5], 3, v12
	v_addc_co_u32_e32 v7, vcc, 0, v7, vcc
	v_lshrrev_b32_e32 v9, 2, v9
	s_or_b64 vcc, s[4:5], s[2:3]
	v_addc_co_u32_e32 v9, vcc, 0, v9, vcc
	v_cmp_gt_i32_e32 vcc, 31, v8
	v_cndmask_b32_e32 v7, v2, v7, vcc
	v_cmp_gt_i32_e32 vcc, 31, v10
	v_lshl_or_b32 v0, v0, 9, v2
	v_cndmask_b32_e32 v9, v2, v9, vcc
	v_cmp_eq_u32_e32 vcc, s18, v8
	v_lshrrev_b32_e32 v1, 16, v1
	v_lshl_or_b32 v5, v5, 9, v2
	v_cndmask_b32_e32 v0, v7, v0, vcc
	v_cmp_eq_u32_e32 vcc, s18, v10
	v_lshrrev_b32_e32 v6, 16, v6
	v_cndmask_b32_e32 v5, v9, v5, vcc
	v_and_or_b32 v0, v1, s17, v0
	v_and_or_b32 v1, v6, s17, v5
	v_and_b32_e32 v0, 0xffff, v0
	v_lshl_or_b32 v0, v1, 16, v0
	global_store_dword v[3:4], v0, off
	global_load_dword v5, v49, s[6:7] offset:2340
	v_add_u32_e32 v0, 0x800, v49
	ds_read2_b32 v[0:1], v0 offset0:73 offset1:190
	v_add_co_u32_e32 v3, vcc, s8, v3
	s_waitcnt lgkmcnt(0)
	v_lshrrev_b32_e32 v6, 16, v0
	s_waitcnt vmcnt(0)
	v_mul_f16_sdwa v7, v6, v5 dst_sel:DWORD dst_unused:UNUSED_PAD src0_sel:DWORD src1_sel:WORD_1
	v_fma_f16 v7, v0, v5, v7
	v_mul_f16_sdwa v0, v0, v5 dst_sel:DWORD dst_unused:UNUSED_PAD src0_sel:DWORD src1_sel:WORD_1
	v_cvt_f32_f16_e32 v7, v7
	v_fma_f16 v0, v5, v6, -v0
	v_cvt_f32_f16_e32 v0, v0
	v_cvt_f64_f32_e32 v[5:6], v7
	v_cvt_f64_f32_e32 v[7:8], v0
	v_mov_b32_e32 v0, s9
	v_mul_f64 v[5:6], v[5:6], s[14:15]
	v_addc_co_u32_e32 v4, vcc, v4, v0, vcc
	v_mul_f64 v[7:8], v[7:8], s[14:15]
	v_and_or_b32 v0, v6, s16, v5
	v_cmp_ne_u32_e32 vcc, 0, v0
	v_lshrrev_b32_e32 v5, 8, v6
	v_and_or_b32 v7, v8, s16, v7
	v_bfe_u32 v9, v6, 20, 11
	v_cndmask_b32_e64 v0, 0, 1, vcc
	v_cmp_ne_u32_e32 vcc, 0, v7
	v_lshrrev_b32_e32 v10, 8, v8
	v_bfe_u32 v11, v8, 20, 11
	v_sub_u32_e32 v12, 0x3f1, v9
	v_cndmask_b32_e64 v7, 0, 1, vcc
	v_and_or_b32 v0, v5, s10, v0
	v_sub_u32_e32 v13, 0x3f1, v11
	v_med3_i32 v5, v12, 0, 13
	v_and_or_b32 v7, v10, s10, v7
	v_or_b32_e32 v12, 0x1000, v0
	v_add_u32_e32 v9, 0xfffffc10, v9
	v_med3_i32 v10, v13, 0, 13
	v_cmp_ne_u32_e32 vcc, 0, v0
	v_or_b32_e32 v14, 0x1000, v7
	v_lshrrev_b32_e32 v16, v5, v12
	v_add_u32_e32 v11, 0xfffffc10, v11
	v_lshl_or_b32 v13, v9, 12, v0
	v_cndmask_b32_e64 v0, 0, 1, vcc
	v_cmp_ne_u32_e32 vcc, 0, v7
	v_lshrrev_b32_e32 v17, v10, v14
	v_lshlrev_b32_e32 v5, v5, v16
	v_lshl_or_b32 v15, v11, 12, v7
	v_cndmask_b32_e64 v7, 0, 1, vcc
	v_lshlrev_b32_e32 v10, v10, v17
	v_cmp_ne_u32_e32 vcc, v5, v12
	v_cndmask_b32_e64 v5, 0, 1, vcc
	v_cmp_ne_u32_e32 vcc, v10, v14
	v_cndmask_b32_e64 v10, 0, 1, vcc
	v_or_b32_e32 v5, v16, v5
	v_cmp_gt_i32_e32 vcc, 1, v9
	v_cndmask_b32_e32 v5, v13, v5, vcc
	v_or_b32_e32 v10, v17, v10
	v_cmp_gt_i32_e32 vcc, 1, v11
	v_and_b32_e32 v12, 7, v5
	v_cndmask_b32_e32 v10, v15, v10, vcc
	v_cmp_lt_i32_e32 vcc, 5, v12
	v_cmp_eq_u32_e64 s[0:1], 3, v12
	v_lshrrev_b32_e32 v5, 2, v5
	v_and_b32_e32 v13, 7, v10
	s_or_b64 vcc, s[0:1], vcc
	v_cmp_lt_i32_e64 s[2:3], 5, v13
	v_cmp_eq_u32_e64 s[4:5], 3, v13
	v_addc_co_u32_e32 v5, vcc, 0, v5, vcc
	v_lshrrev_b32_e32 v10, 2, v10
	s_or_b64 vcc, s[4:5], s[2:3]
	v_addc_co_u32_e32 v10, vcc, 0, v10, vcc
	v_cmp_gt_i32_e32 vcc, 31, v9
	v_cndmask_b32_e32 v5, v2, v5, vcc
	v_cmp_gt_i32_e32 vcc, 31, v11
	v_lshl_or_b32 v0, v0, 9, v2
	v_cndmask_b32_e32 v10, v2, v10, vcc
	v_cmp_eq_u32_e32 vcc, s18, v9
	v_lshrrev_b32_e32 v6, 16, v6
	v_lshl_or_b32 v7, v7, 9, v2
	v_cndmask_b32_e32 v0, v5, v0, vcc
	v_cmp_eq_u32_e32 vcc, s18, v11
	v_lshrrev_b32_e32 v8, 16, v8
	v_cndmask_b32_e32 v5, v10, v7, vcc
	v_and_or_b32 v0, v6, s17, v0
	v_and_or_b32 v5, v8, s17, v5
	v_and_b32_e32 v0, 0xffff, v0
	v_lshl_or_b32 v0, v5, 16, v0
	global_store_dword v[3:4], v0, off
	global_load_dword v0, v49, s[6:7] offset:2808
	v_lshrrev_b32_e32 v5, 16, v1
	v_mov_b32_e32 v7, s9
	v_add_co_u32_e32 v3, vcc, s8, v3
	v_addc_co_u32_e32 v4, vcc, v4, v7, vcc
	s_waitcnt vmcnt(0)
	v_mul_f16_sdwa v6, v5, v0 dst_sel:DWORD dst_unused:UNUSED_PAD src0_sel:DWORD src1_sel:WORD_1
	v_fma_f16 v6, v1, v0, v6
	v_mul_f16_sdwa v1, v1, v0 dst_sel:DWORD dst_unused:UNUSED_PAD src0_sel:DWORD src1_sel:WORD_1
	v_cvt_f32_f16_e32 v6, v6
	v_fma_f16 v0, v0, v5, -v1
	v_cvt_f32_f16_e32 v5, v0
	v_cvt_f64_f32_e32 v[0:1], v6
	v_cvt_f64_f32_e32 v[5:6], v5
	v_mul_f64 v[0:1], v[0:1], s[14:15]
	v_mul_f64 v[5:6], v[5:6], s[14:15]
	v_and_or_b32 v0, v1, s16, v0
	v_cmp_ne_u32_e32 vcc, 0, v0
	v_and_or_b32 v5, v6, s16, v5
	v_lshrrev_b32_e32 v7, 8, v1
	v_bfe_u32 v8, v1, 20, 11
	v_cndmask_b32_e64 v0, 0, 1, vcc
	v_cmp_ne_u32_e32 vcc, 0, v5
	v_lshrrev_b32_e32 v9, 8, v6
	v_bfe_u32 v10, v6, 20, 11
	v_sub_u32_e32 v11, 0x3f1, v8
	v_cndmask_b32_e64 v5, 0, 1, vcc
	v_and_or_b32 v0, v7, s10, v0
	v_sub_u32_e32 v12, 0x3f1, v10
	v_med3_i32 v7, v11, 0, 13
	v_and_or_b32 v5, v9, s10, v5
	v_or_b32_e32 v11, 0x1000, v0
	v_add_u32_e32 v8, 0xfffffc10, v8
	v_med3_i32 v9, v12, 0, 13
	v_cmp_ne_u32_e32 vcc, 0, v0
	v_or_b32_e32 v13, 0x1000, v5
	v_lshrrev_b32_e32 v15, v7, v11
	v_add_u32_e32 v10, 0xfffffc10, v10
	v_lshl_or_b32 v12, v8, 12, v0
	v_cndmask_b32_e64 v0, 0, 1, vcc
	v_cmp_ne_u32_e32 vcc, 0, v5
	v_lshrrev_b32_e32 v16, v9, v13
	v_lshlrev_b32_e32 v7, v7, v15
	v_lshl_or_b32 v14, v10, 12, v5
	v_cndmask_b32_e64 v5, 0, 1, vcc
	v_lshlrev_b32_e32 v9, v9, v16
	v_cmp_ne_u32_e32 vcc, v7, v11
	v_cndmask_b32_e64 v7, 0, 1, vcc
	v_cmp_ne_u32_e32 vcc, v9, v13
	v_cndmask_b32_e64 v9, 0, 1, vcc
	v_or_b32_e32 v7, v15, v7
	v_cmp_gt_i32_e32 vcc, 1, v8
	v_cndmask_b32_e32 v7, v12, v7, vcc
	v_or_b32_e32 v9, v16, v9
	v_cmp_gt_i32_e32 vcc, 1, v10
	v_and_b32_e32 v11, 7, v7
	v_cndmask_b32_e32 v9, v14, v9, vcc
	v_cmp_lt_i32_e32 vcc, 5, v11
	v_cmp_eq_u32_e64 s[0:1], 3, v11
	v_lshrrev_b32_e32 v7, 2, v7
	v_and_b32_e32 v12, 7, v9
	s_or_b64 vcc, s[0:1], vcc
	v_cmp_lt_i32_e64 s[2:3], 5, v12
	v_cmp_eq_u32_e64 s[4:5], 3, v12
	v_addc_co_u32_e32 v7, vcc, 0, v7, vcc
	v_lshrrev_b32_e32 v9, 2, v9
	s_or_b64 vcc, s[4:5], s[2:3]
	v_addc_co_u32_e32 v9, vcc, 0, v9, vcc
	v_cmp_gt_i32_e32 vcc, 31, v8
	v_cndmask_b32_e32 v7, v2, v7, vcc
	v_cmp_gt_i32_e32 vcc, 31, v10
	v_lshl_or_b32 v0, v0, 9, v2
	v_cndmask_b32_e32 v9, v2, v9, vcc
	v_cmp_eq_u32_e32 vcc, s18, v8
	v_lshrrev_b32_e32 v1, 16, v1
	v_lshl_or_b32 v5, v5, 9, v2
	v_cndmask_b32_e32 v0, v7, v0, vcc
	v_cmp_eq_u32_e32 vcc, s18, v10
	v_lshrrev_b32_e32 v6, 16, v6
	v_cndmask_b32_e32 v5, v9, v5, vcc
	v_and_or_b32 v0, v1, s17, v0
	v_and_or_b32 v1, v6, s17, v5
	v_and_b32_e32 v0, 0xffff, v0
	v_lshl_or_b32 v0, v1, 16, v0
	global_store_dword v[3:4], v0, off
	global_load_dword v5, v49, s[6:7] offset:3276
	v_add_u32_e32 v0, 0xc00, v49
	ds_read2_b32 v[0:1], v0 offset0:51 offset1:168
	v_add_co_u32_e32 v3, vcc, s8, v3
	s_waitcnt lgkmcnt(0)
	v_lshrrev_b32_e32 v6, 16, v0
	s_waitcnt vmcnt(0)
	v_mul_f16_sdwa v7, v6, v5 dst_sel:DWORD dst_unused:UNUSED_PAD src0_sel:DWORD src1_sel:WORD_1
	v_fma_f16 v7, v0, v5, v7
	v_mul_f16_sdwa v0, v0, v5 dst_sel:DWORD dst_unused:UNUSED_PAD src0_sel:DWORD src1_sel:WORD_1
	v_cvt_f32_f16_e32 v7, v7
	v_fma_f16 v0, v5, v6, -v0
	v_cvt_f32_f16_e32 v0, v0
	v_cvt_f64_f32_e32 v[5:6], v7
	v_cvt_f64_f32_e32 v[7:8], v0
	v_mov_b32_e32 v0, s9
	v_mul_f64 v[5:6], v[5:6], s[14:15]
	v_addc_co_u32_e32 v4, vcc, v4, v0, vcc
	v_mul_f64 v[7:8], v[7:8], s[14:15]
	v_and_or_b32 v0, v6, s16, v5
	v_cmp_ne_u32_e32 vcc, 0, v0
	v_lshrrev_b32_e32 v5, 8, v6
	v_and_or_b32 v7, v8, s16, v7
	v_bfe_u32 v9, v6, 20, 11
	v_cndmask_b32_e64 v0, 0, 1, vcc
	v_cmp_ne_u32_e32 vcc, 0, v7
	v_lshrrev_b32_e32 v10, 8, v8
	v_bfe_u32 v11, v8, 20, 11
	v_sub_u32_e32 v12, 0x3f1, v9
	v_cndmask_b32_e64 v7, 0, 1, vcc
	v_and_or_b32 v0, v5, s10, v0
	v_sub_u32_e32 v13, 0x3f1, v11
	v_med3_i32 v5, v12, 0, 13
	v_and_or_b32 v7, v10, s10, v7
	v_or_b32_e32 v12, 0x1000, v0
	v_add_u32_e32 v9, 0xfffffc10, v9
	v_med3_i32 v10, v13, 0, 13
	v_cmp_ne_u32_e32 vcc, 0, v0
	v_or_b32_e32 v14, 0x1000, v7
	v_lshrrev_b32_e32 v16, v5, v12
	v_add_u32_e32 v11, 0xfffffc10, v11
	v_lshl_or_b32 v13, v9, 12, v0
	v_cndmask_b32_e64 v0, 0, 1, vcc
	v_cmp_ne_u32_e32 vcc, 0, v7
	v_lshrrev_b32_e32 v17, v10, v14
	v_lshlrev_b32_e32 v5, v5, v16
	v_lshl_or_b32 v15, v11, 12, v7
	v_cndmask_b32_e64 v7, 0, 1, vcc
	v_lshlrev_b32_e32 v10, v10, v17
	v_cmp_ne_u32_e32 vcc, v5, v12
	v_cndmask_b32_e64 v5, 0, 1, vcc
	v_cmp_ne_u32_e32 vcc, v10, v14
	v_cndmask_b32_e64 v10, 0, 1, vcc
	v_or_b32_e32 v5, v16, v5
	v_cmp_gt_i32_e32 vcc, 1, v9
	v_cndmask_b32_e32 v5, v13, v5, vcc
	v_or_b32_e32 v10, v17, v10
	v_cmp_gt_i32_e32 vcc, 1, v11
	v_and_b32_e32 v12, 7, v5
	v_cndmask_b32_e32 v10, v15, v10, vcc
	v_cmp_lt_i32_e32 vcc, 5, v12
	v_cmp_eq_u32_e64 s[0:1], 3, v12
	v_lshrrev_b32_e32 v5, 2, v5
	v_and_b32_e32 v13, 7, v10
	s_or_b64 vcc, s[0:1], vcc
	v_cmp_lt_i32_e64 s[2:3], 5, v13
	v_cmp_eq_u32_e64 s[4:5], 3, v13
	v_addc_co_u32_e32 v5, vcc, 0, v5, vcc
	v_lshrrev_b32_e32 v10, 2, v10
	s_or_b64 vcc, s[4:5], s[2:3]
	v_addc_co_u32_e32 v10, vcc, 0, v10, vcc
	v_cmp_gt_i32_e32 vcc, 31, v9
	v_cndmask_b32_e32 v5, v2, v5, vcc
	v_cmp_gt_i32_e32 vcc, 31, v11
	v_lshl_or_b32 v0, v0, 9, v2
	v_cndmask_b32_e32 v10, v2, v10, vcc
	v_cmp_eq_u32_e32 vcc, s18, v9
	v_lshrrev_b32_e32 v6, 16, v6
	v_lshl_or_b32 v7, v7, 9, v2
	v_cndmask_b32_e32 v0, v5, v0, vcc
	v_cmp_eq_u32_e32 vcc, s18, v11
	v_lshrrev_b32_e32 v8, 16, v8
	v_cndmask_b32_e32 v5, v10, v7, vcc
	v_and_or_b32 v0, v6, s17, v0
	v_and_or_b32 v5, v8, s17, v5
	v_and_b32_e32 v0, 0xffff, v0
	v_lshl_or_b32 v0, v5, 16, v0
	global_store_dword v[3:4], v0, off
	global_load_dword v0, v49, s[6:7] offset:3744
	v_lshrrev_b32_e32 v6, 16, v1
	v_mov_b32_e32 v5, s7
	v_add_co_u32_e32 v9, vcc, s6, v49
	v_addc_co_u32_e32 v10, vcc, 0, v5, vcc
	s_movk_i32 s0, 0x1000
	v_mov_b32_e32 v11, s9
	s_waitcnt vmcnt(0)
	v_mul_f16_sdwa v7, v6, v0 dst_sel:DWORD dst_unused:UNUSED_PAD src0_sel:DWORD src1_sel:WORD_1
	v_fma_f16 v7, v1, v0, v7
	v_mul_f16_sdwa v1, v1, v0 dst_sel:DWORD dst_unused:UNUSED_PAD src0_sel:DWORD src1_sel:WORD_1
	v_cvt_f32_f16_e32 v7, v7
	v_fma_f16 v0, v0, v6, -v1
	v_cvt_f32_f16_e32 v6, v0
	v_cvt_f64_f32_e32 v[0:1], v7
	v_cvt_f64_f32_e32 v[5:6], v6
	v_mul_f64 v[7:8], v[0:1], s[14:15]
	v_add_co_u32_e32 v0, vcc, s0, v9
	v_mul_f64 v[5:6], v[5:6], s[14:15]
	v_addc_co_u32_e32 v1, vcc, 0, v10, vcc
	v_add_co_u32_e32 v3, vcc, s8, v3
	v_addc_co_u32_e32 v4, vcc, v4, v11, vcc
	v_and_or_b32 v7, v8, s16, v7
	v_and_or_b32 v5, v6, s16, v5
	v_cmp_ne_u32_e32 vcc, 0, v7
	v_lshrrev_b32_e32 v9, 8, v8
	v_bfe_u32 v10, v8, 20, 11
	v_cndmask_b32_e64 v7, 0, 1, vcc
	v_cmp_ne_u32_e32 vcc, 0, v5
	v_lshrrev_b32_e32 v11, 8, v6
	v_bfe_u32 v12, v6, 20, 11
	v_sub_u32_e32 v13, 0x3f1, v10
	v_cndmask_b32_e64 v5, 0, 1, vcc
	v_and_or_b32 v7, v9, s10, v7
	v_sub_u32_e32 v14, 0x3f1, v12
	v_med3_i32 v9, v13, 0, 13
	v_and_or_b32 v5, v11, s10, v5
	v_or_b32_e32 v13, 0x1000, v7
	v_add_u32_e32 v10, 0xfffffc10, v10
	v_med3_i32 v11, v14, 0, 13
	v_cmp_ne_u32_e32 vcc, 0, v7
	v_or_b32_e32 v15, 0x1000, v5
	v_lshrrev_b32_e32 v17, v9, v13
	v_add_u32_e32 v12, 0xfffffc10, v12
	v_lshl_or_b32 v14, v10, 12, v7
	v_cndmask_b32_e64 v7, 0, 1, vcc
	v_cmp_ne_u32_e32 vcc, 0, v5
	v_lshrrev_b32_e32 v18, v11, v15
	v_lshlrev_b32_e32 v9, v9, v17
	v_lshl_or_b32 v16, v12, 12, v5
	v_cndmask_b32_e64 v5, 0, 1, vcc
	v_lshlrev_b32_e32 v11, v11, v18
	v_cmp_ne_u32_e32 vcc, v9, v13
	v_cndmask_b32_e64 v9, 0, 1, vcc
	v_cmp_ne_u32_e32 vcc, v11, v15
	v_cndmask_b32_e64 v11, 0, 1, vcc
	v_or_b32_e32 v9, v17, v9
	v_cmp_gt_i32_e32 vcc, 1, v10
	v_cndmask_b32_e32 v9, v14, v9, vcc
	v_or_b32_e32 v11, v18, v11
	v_cmp_gt_i32_e32 vcc, 1, v12
	v_and_b32_e32 v13, 7, v9
	v_cndmask_b32_e32 v11, v16, v11, vcc
	v_cmp_lt_i32_e32 vcc, 5, v13
	v_cmp_eq_u32_e64 s[0:1], 3, v13
	v_lshrrev_b32_e32 v9, 2, v9
	v_and_b32_e32 v14, 7, v11
	s_or_b64 vcc, s[0:1], vcc
	v_cmp_lt_i32_e64 s[2:3], 5, v14
	v_cmp_eq_u32_e64 s[4:5], 3, v14
	v_addc_co_u32_e32 v9, vcc, 0, v9, vcc
	v_lshrrev_b32_e32 v11, 2, v11
	s_or_b64 vcc, s[4:5], s[2:3]
	v_addc_co_u32_e32 v11, vcc, 0, v11, vcc
	v_cmp_gt_i32_e32 vcc, 31, v10
	v_cndmask_b32_e32 v9, v2, v9, vcc
	v_cmp_gt_i32_e32 vcc, 31, v12
	v_lshl_or_b32 v7, v7, 9, v2
	v_cndmask_b32_e32 v11, v2, v11, vcc
	v_cmp_eq_u32_e32 vcc, s18, v10
	v_lshrrev_b32_e32 v8, 16, v8
	v_lshl_or_b32 v5, v5, 9, v2
	v_cndmask_b32_e32 v7, v9, v7, vcc
	v_cmp_eq_u32_e32 vcc, s18, v12
	v_lshrrev_b32_e32 v6, 16, v6
	v_cndmask_b32_e32 v5, v11, v5, vcc
	v_and_or_b32 v7, v8, s17, v7
	v_and_or_b32 v5, v6, s17, v5
	v_and_b32_e32 v6, 0xffff, v7
	v_lshl_or_b32 v5, v5, 16, v6
	global_store_dword v[3:4], v5, off
	global_load_dword v7, v[0:1], off offset:116
	v_add_u32_e32 v5, 0x1000, v49
	ds_read2_b32 v[5:6], v5 offset0:29 offset1:146
	v_add_co_u32_e32 v3, vcc, s8, v3
	s_waitcnt lgkmcnt(0)
	v_lshrrev_b32_e32 v8, 16, v5
	s_waitcnt vmcnt(0)
	v_mul_f16_sdwa v9, v8, v7 dst_sel:DWORD dst_unused:UNUSED_PAD src0_sel:DWORD src1_sel:WORD_1
	v_fma_f16 v9, v5, v7, v9
	v_mul_f16_sdwa v5, v5, v7 dst_sel:DWORD dst_unused:UNUSED_PAD src0_sel:DWORD src1_sel:WORD_1
	v_cvt_f32_f16_e32 v9, v9
	v_fma_f16 v5, v7, v8, -v5
	v_cvt_f32_f16_e32 v5, v5
	v_cvt_f64_f32_e32 v[7:8], v9
	v_cvt_f64_f32_e32 v[9:10], v5
	v_mov_b32_e32 v5, s9
	v_mul_f64 v[7:8], v[7:8], s[14:15]
	v_addc_co_u32_e32 v4, vcc, v4, v5, vcc
	v_mul_f64 v[9:10], v[9:10], s[14:15]
	v_and_or_b32 v5, v8, s16, v7
	v_cmp_ne_u32_e32 vcc, 0, v5
	v_lshrrev_b32_e32 v7, 8, v8
	v_and_or_b32 v9, v10, s16, v9
	v_bfe_u32 v11, v8, 20, 11
	v_cndmask_b32_e64 v5, 0, 1, vcc
	v_cmp_ne_u32_e32 vcc, 0, v9
	v_lshrrev_b32_e32 v12, 8, v10
	v_bfe_u32 v13, v10, 20, 11
	v_sub_u32_e32 v14, 0x3f1, v11
	v_cndmask_b32_e64 v9, 0, 1, vcc
	v_and_or_b32 v5, v7, s10, v5
	v_sub_u32_e32 v15, 0x3f1, v13
	v_med3_i32 v7, v14, 0, 13
	v_and_or_b32 v9, v12, s10, v9
	v_or_b32_e32 v14, 0x1000, v5
	v_add_u32_e32 v11, 0xfffffc10, v11
	v_med3_i32 v12, v15, 0, 13
	v_cmp_ne_u32_e32 vcc, 0, v5
	v_or_b32_e32 v16, 0x1000, v9
	v_lshrrev_b32_e32 v18, v7, v14
	v_add_u32_e32 v13, 0xfffffc10, v13
	v_lshl_or_b32 v15, v11, 12, v5
	v_cndmask_b32_e64 v5, 0, 1, vcc
	v_cmp_ne_u32_e32 vcc, 0, v9
	v_lshrrev_b32_e32 v19, v12, v16
	v_lshlrev_b32_e32 v7, v7, v18
	v_lshl_or_b32 v17, v13, 12, v9
	v_cndmask_b32_e64 v9, 0, 1, vcc
	v_lshlrev_b32_e32 v12, v12, v19
	v_cmp_ne_u32_e32 vcc, v7, v14
	v_cndmask_b32_e64 v7, 0, 1, vcc
	v_cmp_ne_u32_e32 vcc, v12, v16
	v_cndmask_b32_e64 v12, 0, 1, vcc
	v_or_b32_e32 v7, v18, v7
	v_cmp_gt_i32_e32 vcc, 1, v11
	v_cndmask_b32_e32 v7, v15, v7, vcc
	v_or_b32_e32 v12, v19, v12
	v_cmp_gt_i32_e32 vcc, 1, v13
	v_and_b32_e32 v14, 7, v7
	v_cndmask_b32_e32 v12, v17, v12, vcc
	v_cmp_lt_i32_e32 vcc, 5, v14
	v_cmp_eq_u32_e64 s[0:1], 3, v14
	v_lshrrev_b32_e32 v7, 2, v7
	v_and_b32_e32 v15, 7, v12
	s_or_b64 vcc, s[0:1], vcc
	v_cmp_lt_i32_e64 s[2:3], 5, v15
	v_cmp_eq_u32_e64 s[4:5], 3, v15
	v_addc_co_u32_e32 v7, vcc, 0, v7, vcc
	v_lshrrev_b32_e32 v12, 2, v12
	s_or_b64 vcc, s[4:5], s[2:3]
	v_addc_co_u32_e32 v12, vcc, 0, v12, vcc
	v_cmp_gt_i32_e32 vcc, 31, v11
	v_cndmask_b32_e32 v7, v2, v7, vcc
	v_cmp_gt_i32_e32 vcc, 31, v13
	v_lshl_or_b32 v5, v5, 9, v2
	v_cndmask_b32_e32 v12, v2, v12, vcc
	v_cmp_eq_u32_e32 vcc, s18, v11
	v_lshrrev_b32_e32 v8, 16, v8
	v_lshl_or_b32 v9, v9, 9, v2
	v_cndmask_b32_e32 v5, v7, v5, vcc
	v_cmp_eq_u32_e32 vcc, s18, v13
	v_lshrrev_b32_e32 v10, 16, v10
	v_cndmask_b32_e32 v7, v12, v9, vcc
	v_and_or_b32 v5, v8, s17, v5
	v_and_or_b32 v7, v10, s17, v7
	v_and_b32_e32 v5, 0xffff, v5
	v_lshl_or_b32 v5, v7, 16, v5
	global_store_dword v[3:4], v5, off
	global_load_dword v5, v[0:1], off offset:584
	v_lshrrev_b32_e32 v7, 16, v6
	v_mov_b32_e32 v9, s9
	v_add_co_u32_e32 v3, vcc, s8, v3
	v_addc_co_u32_e32 v4, vcc, v4, v9, vcc
	s_waitcnt vmcnt(0)
	v_mul_f16_sdwa v8, v7, v5 dst_sel:DWORD dst_unused:UNUSED_PAD src0_sel:DWORD src1_sel:WORD_1
	v_fma_f16 v8, v6, v5, v8
	v_mul_f16_sdwa v6, v6, v5 dst_sel:DWORD dst_unused:UNUSED_PAD src0_sel:DWORD src1_sel:WORD_1
	v_cvt_f32_f16_e32 v8, v8
	v_fma_f16 v5, v5, v7, -v6
	v_cvt_f32_f16_e32 v7, v5
	v_cvt_f64_f32_e32 v[5:6], v8
	v_cvt_f64_f32_e32 v[7:8], v7
	v_mul_f64 v[5:6], v[5:6], s[14:15]
	v_mul_f64 v[7:8], v[7:8], s[14:15]
	v_and_or_b32 v5, v6, s16, v5
	v_cmp_ne_u32_e32 vcc, 0, v5
	v_and_or_b32 v7, v8, s16, v7
	v_lshrrev_b32_e32 v9, 8, v6
	v_bfe_u32 v10, v6, 20, 11
	v_cndmask_b32_e64 v5, 0, 1, vcc
	v_cmp_ne_u32_e32 vcc, 0, v7
	v_lshrrev_b32_e32 v11, 8, v8
	v_bfe_u32 v12, v8, 20, 11
	v_sub_u32_e32 v13, 0x3f1, v10
	v_cndmask_b32_e64 v7, 0, 1, vcc
	v_and_or_b32 v5, v9, s10, v5
	v_sub_u32_e32 v14, 0x3f1, v12
	v_med3_i32 v9, v13, 0, 13
	v_and_or_b32 v7, v11, s10, v7
	v_or_b32_e32 v13, 0x1000, v5
	v_add_u32_e32 v10, 0xfffffc10, v10
	v_med3_i32 v11, v14, 0, 13
	v_cmp_ne_u32_e32 vcc, 0, v5
	v_or_b32_e32 v15, 0x1000, v7
	v_lshrrev_b32_e32 v17, v9, v13
	v_add_u32_e32 v12, 0xfffffc10, v12
	v_lshl_or_b32 v14, v10, 12, v5
	v_cndmask_b32_e64 v5, 0, 1, vcc
	v_cmp_ne_u32_e32 vcc, 0, v7
	v_lshrrev_b32_e32 v18, v11, v15
	v_lshlrev_b32_e32 v9, v9, v17
	v_lshl_or_b32 v16, v12, 12, v7
	v_cndmask_b32_e64 v7, 0, 1, vcc
	v_lshlrev_b32_e32 v11, v11, v18
	v_cmp_ne_u32_e32 vcc, v9, v13
	v_cndmask_b32_e64 v9, 0, 1, vcc
	v_cmp_ne_u32_e32 vcc, v11, v15
	v_cndmask_b32_e64 v11, 0, 1, vcc
	v_or_b32_e32 v9, v17, v9
	v_cmp_gt_i32_e32 vcc, 1, v10
	v_cndmask_b32_e32 v9, v14, v9, vcc
	v_or_b32_e32 v11, v18, v11
	v_cmp_gt_i32_e32 vcc, 1, v12
	v_and_b32_e32 v13, 7, v9
	v_cndmask_b32_e32 v11, v16, v11, vcc
	v_cmp_lt_i32_e32 vcc, 5, v13
	v_cmp_eq_u32_e64 s[0:1], 3, v13
	v_lshrrev_b32_e32 v9, 2, v9
	v_and_b32_e32 v14, 7, v11
	s_or_b64 vcc, s[0:1], vcc
	v_cmp_lt_i32_e64 s[2:3], 5, v14
	v_cmp_eq_u32_e64 s[4:5], 3, v14
	v_addc_co_u32_e32 v9, vcc, 0, v9, vcc
	v_lshrrev_b32_e32 v11, 2, v11
	s_or_b64 vcc, s[4:5], s[2:3]
	v_addc_co_u32_e32 v11, vcc, 0, v11, vcc
	v_cmp_gt_i32_e32 vcc, 31, v10
	v_cndmask_b32_e32 v9, v2, v9, vcc
	v_cmp_gt_i32_e32 vcc, 31, v12
	v_lshl_or_b32 v5, v5, 9, v2
	v_cndmask_b32_e32 v11, v2, v11, vcc
	v_cmp_eq_u32_e32 vcc, s18, v10
	v_lshrrev_b32_e32 v6, 16, v6
	v_lshl_or_b32 v7, v7, 9, v2
	v_cndmask_b32_e32 v5, v9, v5, vcc
	v_cmp_eq_u32_e32 vcc, s18, v12
	v_lshrrev_b32_e32 v8, 16, v8
	v_cndmask_b32_e32 v7, v11, v7, vcc
	v_and_or_b32 v5, v6, s17, v5
	v_and_or_b32 v6, v8, s17, v7
	v_and_b32_e32 v5, 0xffff, v5
	v_lshl_or_b32 v5, v6, 16, v5
	global_store_dword v[3:4], v5, off
	global_load_dword v7, v[0:1], off offset:1052
	v_add_u32_e32 v5, 0x1400, v49
	ds_read2_b32 v[5:6], v5 offset0:7 offset1:124
	v_add_co_u32_e32 v3, vcc, s8, v3
	s_waitcnt lgkmcnt(0)
	v_lshrrev_b32_e32 v8, 16, v5
	s_waitcnt vmcnt(0)
	v_mul_f16_sdwa v9, v8, v7 dst_sel:DWORD dst_unused:UNUSED_PAD src0_sel:DWORD src1_sel:WORD_1
	v_fma_f16 v9, v5, v7, v9
	v_mul_f16_sdwa v5, v5, v7 dst_sel:DWORD dst_unused:UNUSED_PAD src0_sel:DWORD src1_sel:WORD_1
	v_cvt_f32_f16_e32 v9, v9
	v_fma_f16 v5, v7, v8, -v5
	v_cvt_f32_f16_e32 v5, v5
	v_cvt_f64_f32_e32 v[7:8], v9
	v_cvt_f64_f32_e32 v[9:10], v5
	v_mov_b32_e32 v5, s9
	v_mul_f64 v[7:8], v[7:8], s[14:15]
	v_addc_co_u32_e32 v4, vcc, v4, v5, vcc
	v_mul_f64 v[9:10], v[9:10], s[14:15]
	v_and_or_b32 v5, v8, s16, v7
	v_cmp_ne_u32_e32 vcc, 0, v5
	v_lshrrev_b32_e32 v7, 8, v8
	v_and_or_b32 v9, v10, s16, v9
	v_bfe_u32 v11, v8, 20, 11
	v_cndmask_b32_e64 v5, 0, 1, vcc
	v_cmp_ne_u32_e32 vcc, 0, v9
	v_lshrrev_b32_e32 v12, 8, v10
	v_bfe_u32 v13, v10, 20, 11
	v_sub_u32_e32 v14, 0x3f1, v11
	v_cndmask_b32_e64 v9, 0, 1, vcc
	v_and_or_b32 v5, v7, s10, v5
	v_sub_u32_e32 v15, 0x3f1, v13
	v_med3_i32 v7, v14, 0, 13
	v_and_or_b32 v9, v12, s10, v9
	v_or_b32_e32 v14, 0x1000, v5
	v_add_u32_e32 v11, 0xfffffc10, v11
	v_med3_i32 v12, v15, 0, 13
	v_cmp_ne_u32_e32 vcc, 0, v5
	v_or_b32_e32 v16, 0x1000, v9
	v_lshrrev_b32_e32 v18, v7, v14
	v_add_u32_e32 v13, 0xfffffc10, v13
	v_lshl_or_b32 v15, v11, 12, v5
	v_cndmask_b32_e64 v5, 0, 1, vcc
	v_cmp_ne_u32_e32 vcc, 0, v9
	v_lshrrev_b32_e32 v19, v12, v16
	v_lshlrev_b32_e32 v7, v7, v18
	v_lshl_or_b32 v17, v13, 12, v9
	v_cndmask_b32_e64 v9, 0, 1, vcc
	v_lshlrev_b32_e32 v12, v12, v19
	v_cmp_ne_u32_e32 vcc, v7, v14
	v_cndmask_b32_e64 v7, 0, 1, vcc
	v_cmp_ne_u32_e32 vcc, v12, v16
	v_cndmask_b32_e64 v12, 0, 1, vcc
	v_or_b32_e32 v7, v18, v7
	v_cmp_gt_i32_e32 vcc, 1, v11
	v_cndmask_b32_e32 v7, v15, v7, vcc
	v_or_b32_e32 v12, v19, v12
	v_cmp_gt_i32_e32 vcc, 1, v13
	v_and_b32_e32 v14, 7, v7
	v_cndmask_b32_e32 v12, v17, v12, vcc
	v_cmp_lt_i32_e32 vcc, 5, v14
	v_cmp_eq_u32_e64 s[0:1], 3, v14
	v_lshrrev_b32_e32 v7, 2, v7
	v_and_b32_e32 v15, 7, v12
	s_or_b64 vcc, s[0:1], vcc
	v_cmp_lt_i32_e64 s[2:3], 5, v15
	v_cmp_eq_u32_e64 s[4:5], 3, v15
	v_addc_co_u32_e32 v7, vcc, 0, v7, vcc
	v_lshrrev_b32_e32 v12, 2, v12
	s_or_b64 vcc, s[4:5], s[2:3]
	v_addc_co_u32_e32 v12, vcc, 0, v12, vcc
	v_cmp_gt_i32_e32 vcc, 31, v11
	v_cndmask_b32_e32 v7, v2, v7, vcc
	v_cmp_gt_i32_e32 vcc, 31, v13
	v_lshl_or_b32 v5, v5, 9, v2
	v_cndmask_b32_e32 v12, v2, v12, vcc
	v_cmp_eq_u32_e32 vcc, s18, v11
	v_lshrrev_b32_e32 v8, 16, v8
	v_lshl_or_b32 v9, v9, 9, v2
	v_cndmask_b32_e32 v5, v7, v5, vcc
	v_cmp_eq_u32_e32 vcc, s18, v13
	v_lshrrev_b32_e32 v10, 16, v10
	v_cndmask_b32_e32 v7, v12, v9, vcc
	v_and_or_b32 v5, v8, s17, v5
	v_and_or_b32 v7, v10, s17, v7
	v_and_b32_e32 v5, 0xffff, v5
	v_lshl_or_b32 v5, v7, 16, v5
	global_store_dword v[3:4], v5, off
	global_load_dword v5, v[0:1], off offset:1520
	v_lshrrev_b32_e32 v7, 16, v6
	v_mov_b32_e32 v9, s9
	v_add_co_u32_e32 v3, vcc, s8, v3
	v_addc_co_u32_e32 v4, vcc, v4, v9, vcc
	s_waitcnt vmcnt(0)
	v_mul_f16_sdwa v8, v7, v5 dst_sel:DWORD dst_unused:UNUSED_PAD src0_sel:DWORD src1_sel:WORD_1
	v_fma_f16 v8, v6, v5, v8
	v_mul_f16_sdwa v6, v6, v5 dst_sel:DWORD dst_unused:UNUSED_PAD src0_sel:DWORD src1_sel:WORD_1
	v_cvt_f32_f16_e32 v8, v8
	v_fma_f16 v5, v5, v7, -v6
	v_cvt_f32_f16_e32 v7, v5
	v_cvt_f64_f32_e32 v[5:6], v8
	v_cvt_f64_f32_e32 v[7:8], v7
	v_mul_f64 v[5:6], v[5:6], s[14:15]
	v_mul_f64 v[7:8], v[7:8], s[14:15]
	v_and_or_b32 v5, v6, s16, v5
	v_cmp_ne_u32_e32 vcc, 0, v5
	v_and_or_b32 v7, v8, s16, v7
	v_lshrrev_b32_e32 v9, 8, v6
	v_bfe_u32 v10, v6, 20, 11
	v_cndmask_b32_e64 v5, 0, 1, vcc
	v_cmp_ne_u32_e32 vcc, 0, v7
	v_lshrrev_b32_e32 v11, 8, v8
	v_bfe_u32 v12, v8, 20, 11
	v_sub_u32_e32 v13, 0x3f1, v10
	v_cndmask_b32_e64 v7, 0, 1, vcc
	v_and_or_b32 v5, v9, s10, v5
	v_sub_u32_e32 v14, 0x3f1, v12
	v_med3_i32 v9, v13, 0, 13
	v_and_or_b32 v7, v11, s10, v7
	v_or_b32_e32 v13, 0x1000, v5
	v_add_u32_e32 v10, 0xfffffc10, v10
	v_med3_i32 v11, v14, 0, 13
	v_cmp_ne_u32_e32 vcc, 0, v5
	v_or_b32_e32 v15, 0x1000, v7
	v_lshrrev_b32_e32 v17, v9, v13
	v_add_u32_e32 v12, 0xfffffc10, v12
	v_lshl_or_b32 v14, v10, 12, v5
	v_cndmask_b32_e64 v5, 0, 1, vcc
	v_cmp_ne_u32_e32 vcc, 0, v7
	v_lshrrev_b32_e32 v18, v11, v15
	v_lshlrev_b32_e32 v9, v9, v17
	v_lshl_or_b32 v16, v12, 12, v7
	v_cndmask_b32_e64 v7, 0, 1, vcc
	v_lshlrev_b32_e32 v11, v11, v18
	v_cmp_ne_u32_e32 vcc, v9, v13
	v_cndmask_b32_e64 v9, 0, 1, vcc
	v_cmp_ne_u32_e32 vcc, v11, v15
	v_cndmask_b32_e64 v11, 0, 1, vcc
	v_or_b32_e32 v9, v17, v9
	v_cmp_gt_i32_e32 vcc, 1, v10
	v_cndmask_b32_e32 v9, v14, v9, vcc
	v_or_b32_e32 v11, v18, v11
	v_cmp_gt_i32_e32 vcc, 1, v12
	v_and_b32_e32 v13, 7, v9
	v_cndmask_b32_e32 v11, v16, v11, vcc
	v_cmp_lt_i32_e32 vcc, 5, v13
	v_cmp_eq_u32_e64 s[0:1], 3, v13
	v_lshrrev_b32_e32 v9, 2, v9
	v_and_b32_e32 v14, 7, v11
	s_or_b64 vcc, s[0:1], vcc
	v_cmp_lt_i32_e64 s[2:3], 5, v14
	v_cmp_eq_u32_e64 s[4:5], 3, v14
	v_addc_co_u32_e32 v9, vcc, 0, v9, vcc
	v_lshrrev_b32_e32 v11, 2, v11
	s_or_b64 vcc, s[4:5], s[2:3]
	v_addc_co_u32_e32 v11, vcc, 0, v11, vcc
	v_cmp_gt_i32_e32 vcc, 31, v10
	v_cndmask_b32_e32 v9, v2, v9, vcc
	v_cmp_gt_i32_e32 vcc, 31, v12
	v_lshl_or_b32 v5, v5, 9, v2
	v_cndmask_b32_e32 v11, v2, v11, vcc
	v_cmp_eq_u32_e32 vcc, s18, v10
	v_lshrrev_b32_e32 v6, 16, v6
	v_lshl_or_b32 v7, v7, 9, v2
	v_cndmask_b32_e32 v5, v9, v5, vcc
	v_cmp_eq_u32_e32 vcc, s18, v12
	v_lshrrev_b32_e32 v8, 16, v8
	v_cndmask_b32_e32 v7, v11, v7, vcc
	v_and_or_b32 v5, v6, s17, v5
	v_and_or_b32 v6, v8, s17, v7
	v_and_b32_e32 v5, 0xffff, v5
	v_lshl_or_b32 v5, v6, 16, v5
	global_store_dword v[3:4], v5, off
	global_load_dword v7, v[0:1], off offset:1988
	v_add_u32_e32 v5, 0x1600, v49
	ds_read2_b32 v[5:6], v5 offset0:113 offset1:230
	v_add_co_u32_e32 v3, vcc, s8, v3
	s_waitcnt lgkmcnt(0)
	v_lshrrev_b32_e32 v8, 16, v5
	s_waitcnt vmcnt(0)
	v_mul_f16_sdwa v9, v8, v7 dst_sel:DWORD dst_unused:UNUSED_PAD src0_sel:DWORD src1_sel:WORD_1
	v_fma_f16 v9, v5, v7, v9
	v_mul_f16_sdwa v5, v5, v7 dst_sel:DWORD dst_unused:UNUSED_PAD src0_sel:DWORD src1_sel:WORD_1
	v_cvt_f32_f16_e32 v9, v9
	v_fma_f16 v5, v7, v8, -v5
	v_cvt_f32_f16_e32 v5, v5
	v_cvt_f64_f32_e32 v[7:8], v9
	v_cvt_f64_f32_e32 v[9:10], v5
	v_mov_b32_e32 v5, s9
	v_mul_f64 v[7:8], v[7:8], s[14:15]
	v_addc_co_u32_e32 v4, vcc, v4, v5, vcc
	v_mul_f64 v[9:10], v[9:10], s[14:15]
	v_and_or_b32 v5, v8, s16, v7
	v_cmp_ne_u32_e32 vcc, 0, v5
	v_lshrrev_b32_e32 v7, 8, v8
	v_and_or_b32 v9, v10, s16, v9
	v_bfe_u32 v11, v8, 20, 11
	v_cndmask_b32_e64 v5, 0, 1, vcc
	v_cmp_ne_u32_e32 vcc, 0, v9
	v_lshrrev_b32_e32 v12, 8, v10
	v_bfe_u32 v13, v10, 20, 11
	v_sub_u32_e32 v14, 0x3f1, v11
	v_cndmask_b32_e64 v9, 0, 1, vcc
	v_and_or_b32 v5, v7, s10, v5
	v_sub_u32_e32 v15, 0x3f1, v13
	v_med3_i32 v7, v14, 0, 13
	v_and_or_b32 v9, v12, s10, v9
	v_or_b32_e32 v14, 0x1000, v5
	v_add_u32_e32 v11, 0xfffffc10, v11
	v_med3_i32 v12, v15, 0, 13
	v_cmp_ne_u32_e32 vcc, 0, v5
	v_or_b32_e32 v16, 0x1000, v9
	v_lshrrev_b32_e32 v18, v7, v14
	v_add_u32_e32 v13, 0xfffffc10, v13
	v_lshl_or_b32 v15, v11, 12, v5
	v_cndmask_b32_e64 v5, 0, 1, vcc
	v_cmp_ne_u32_e32 vcc, 0, v9
	v_lshrrev_b32_e32 v19, v12, v16
	v_lshlrev_b32_e32 v7, v7, v18
	v_lshl_or_b32 v17, v13, 12, v9
	v_cndmask_b32_e64 v9, 0, 1, vcc
	v_lshlrev_b32_e32 v12, v12, v19
	v_cmp_ne_u32_e32 vcc, v7, v14
	v_cndmask_b32_e64 v7, 0, 1, vcc
	v_cmp_ne_u32_e32 vcc, v12, v16
	v_cndmask_b32_e64 v12, 0, 1, vcc
	v_or_b32_e32 v7, v18, v7
	v_cmp_gt_i32_e32 vcc, 1, v11
	v_cndmask_b32_e32 v7, v15, v7, vcc
	v_or_b32_e32 v12, v19, v12
	v_cmp_gt_i32_e32 vcc, 1, v13
	v_and_b32_e32 v14, 7, v7
	v_cndmask_b32_e32 v12, v17, v12, vcc
	v_cmp_lt_i32_e32 vcc, 5, v14
	v_cmp_eq_u32_e64 s[0:1], 3, v14
	v_lshrrev_b32_e32 v7, 2, v7
	v_and_b32_e32 v15, 7, v12
	s_or_b64 vcc, s[0:1], vcc
	v_cmp_lt_i32_e64 s[2:3], 5, v15
	v_cmp_eq_u32_e64 s[4:5], 3, v15
	v_addc_co_u32_e32 v7, vcc, 0, v7, vcc
	v_lshrrev_b32_e32 v12, 2, v12
	s_or_b64 vcc, s[4:5], s[2:3]
	v_addc_co_u32_e32 v12, vcc, 0, v12, vcc
	v_cmp_gt_i32_e32 vcc, 31, v11
	v_cndmask_b32_e32 v7, v2, v7, vcc
	v_cmp_gt_i32_e32 vcc, 31, v13
	v_lshl_or_b32 v5, v5, 9, v2
	v_cndmask_b32_e32 v12, v2, v12, vcc
	v_cmp_eq_u32_e32 vcc, s18, v11
	v_lshrrev_b32_e32 v8, 16, v8
	v_lshl_or_b32 v9, v9, 9, v2
	v_cndmask_b32_e32 v5, v7, v5, vcc
	v_cmp_eq_u32_e32 vcc, s18, v13
	v_lshrrev_b32_e32 v10, 16, v10
	v_cndmask_b32_e32 v7, v12, v9, vcc
	v_and_or_b32 v5, v8, s17, v5
	v_and_or_b32 v7, v10, s17, v7
	v_and_b32_e32 v5, 0xffff, v5
	v_lshl_or_b32 v5, v7, 16, v5
	global_store_dword v[3:4], v5, off
	global_load_dword v5, v[0:1], off offset:2456
	v_lshrrev_b32_e32 v7, 16, v6
	v_mov_b32_e32 v9, s9
	v_add_co_u32_e32 v3, vcc, s8, v3
	v_addc_co_u32_e32 v4, vcc, v4, v9, vcc
	s_waitcnt vmcnt(0)
	v_mul_f16_sdwa v8, v7, v5 dst_sel:DWORD dst_unused:UNUSED_PAD src0_sel:DWORD src1_sel:WORD_1
	v_fma_f16 v8, v6, v5, v8
	v_mul_f16_sdwa v6, v6, v5 dst_sel:DWORD dst_unused:UNUSED_PAD src0_sel:DWORD src1_sel:WORD_1
	v_cvt_f32_f16_e32 v8, v8
	v_fma_f16 v5, v5, v7, -v6
	v_cvt_f32_f16_e32 v7, v5
	v_cvt_f64_f32_e32 v[5:6], v8
	v_cvt_f64_f32_e32 v[7:8], v7
	v_mul_f64 v[5:6], v[5:6], s[14:15]
	v_mul_f64 v[7:8], v[7:8], s[14:15]
	v_and_or_b32 v5, v6, s16, v5
	v_cmp_ne_u32_e32 vcc, 0, v5
	v_and_or_b32 v7, v8, s16, v7
	v_lshrrev_b32_e32 v9, 8, v6
	v_bfe_u32 v10, v6, 20, 11
	v_cndmask_b32_e64 v5, 0, 1, vcc
	v_cmp_ne_u32_e32 vcc, 0, v7
	v_lshrrev_b32_e32 v11, 8, v8
	v_bfe_u32 v12, v8, 20, 11
	v_sub_u32_e32 v13, 0x3f1, v10
	v_cndmask_b32_e64 v7, 0, 1, vcc
	v_and_or_b32 v5, v9, s10, v5
	v_sub_u32_e32 v14, 0x3f1, v12
	v_med3_i32 v9, v13, 0, 13
	v_and_or_b32 v7, v11, s10, v7
	v_or_b32_e32 v13, 0x1000, v5
	v_add_u32_e32 v10, 0xfffffc10, v10
	v_med3_i32 v11, v14, 0, 13
	v_cmp_ne_u32_e32 vcc, 0, v5
	v_or_b32_e32 v15, 0x1000, v7
	v_lshrrev_b32_e32 v17, v9, v13
	v_add_u32_e32 v12, 0xfffffc10, v12
	v_lshl_or_b32 v14, v10, 12, v5
	v_cndmask_b32_e64 v5, 0, 1, vcc
	v_cmp_ne_u32_e32 vcc, 0, v7
	v_lshrrev_b32_e32 v18, v11, v15
	v_lshlrev_b32_e32 v9, v9, v17
	v_lshl_or_b32 v16, v12, 12, v7
	v_cndmask_b32_e64 v7, 0, 1, vcc
	v_lshlrev_b32_e32 v11, v11, v18
	v_cmp_ne_u32_e32 vcc, v9, v13
	v_cndmask_b32_e64 v9, 0, 1, vcc
	v_cmp_ne_u32_e32 vcc, v11, v15
	v_cndmask_b32_e64 v11, 0, 1, vcc
	v_or_b32_e32 v9, v17, v9
	v_cmp_gt_i32_e32 vcc, 1, v10
	v_cndmask_b32_e32 v9, v14, v9, vcc
	v_or_b32_e32 v11, v18, v11
	v_cmp_gt_i32_e32 vcc, 1, v12
	v_and_b32_e32 v13, 7, v9
	v_cndmask_b32_e32 v11, v16, v11, vcc
	v_cmp_lt_i32_e32 vcc, 5, v13
	v_cmp_eq_u32_e64 s[0:1], 3, v13
	v_lshrrev_b32_e32 v9, 2, v9
	v_and_b32_e32 v14, 7, v11
	s_or_b64 vcc, s[0:1], vcc
	v_cmp_lt_i32_e64 s[2:3], 5, v14
	v_cmp_eq_u32_e64 s[4:5], 3, v14
	v_addc_co_u32_e32 v9, vcc, 0, v9, vcc
	v_lshrrev_b32_e32 v11, 2, v11
	s_or_b64 vcc, s[4:5], s[2:3]
	v_addc_co_u32_e32 v11, vcc, 0, v11, vcc
	v_cmp_gt_i32_e32 vcc, 31, v10
	v_cndmask_b32_e32 v9, v2, v9, vcc
	v_cmp_gt_i32_e32 vcc, 31, v12
	v_lshl_or_b32 v5, v5, 9, v2
	v_cndmask_b32_e32 v11, v2, v11, vcc
	v_cmp_eq_u32_e32 vcc, s18, v10
	v_lshrrev_b32_e32 v6, 16, v6
	v_lshl_or_b32 v7, v7, 9, v2
	v_cndmask_b32_e32 v5, v9, v5, vcc
	v_cmp_eq_u32_e32 vcc, s18, v12
	v_lshrrev_b32_e32 v8, 16, v8
	v_cndmask_b32_e32 v7, v11, v7, vcc
	v_and_or_b32 v5, v6, s17, v5
	v_and_or_b32 v6, v8, s17, v7
	v_and_b32_e32 v5, 0xffff, v5
	v_lshl_or_b32 v5, v6, 16, v5
	global_store_dword v[3:4], v5, off
	global_load_dword v7, v[0:1], off offset:2924
	v_add_u32_e32 v5, 0x1a00, v49
	ds_read2_b32 v[5:6], v5 offset0:91 offset1:208
	v_add_co_u32_e32 v3, vcc, s8, v3
	s_waitcnt lgkmcnt(0)
	v_lshrrev_b32_e32 v8, 16, v5
	s_waitcnt vmcnt(0)
	v_mul_f16_sdwa v9, v8, v7 dst_sel:DWORD dst_unused:UNUSED_PAD src0_sel:DWORD src1_sel:WORD_1
	v_fma_f16 v9, v5, v7, v9
	v_mul_f16_sdwa v5, v5, v7 dst_sel:DWORD dst_unused:UNUSED_PAD src0_sel:DWORD src1_sel:WORD_1
	v_cvt_f32_f16_e32 v9, v9
	v_fma_f16 v5, v7, v8, -v5
	v_cvt_f32_f16_e32 v5, v5
	v_cvt_f64_f32_e32 v[7:8], v9
	v_cvt_f64_f32_e32 v[9:10], v5
	v_mov_b32_e32 v5, s9
	v_mul_f64 v[7:8], v[7:8], s[14:15]
	v_addc_co_u32_e32 v4, vcc, v4, v5, vcc
	v_mul_f64 v[9:10], v[9:10], s[14:15]
	v_and_or_b32 v5, v8, s16, v7
	v_cmp_ne_u32_e32 vcc, 0, v5
	v_lshrrev_b32_e32 v7, 8, v8
	v_and_or_b32 v9, v10, s16, v9
	v_bfe_u32 v11, v8, 20, 11
	v_cndmask_b32_e64 v5, 0, 1, vcc
	v_cmp_ne_u32_e32 vcc, 0, v9
	v_lshrrev_b32_e32 v12, 8, v10
	v_bfe_u32 v13, v10, 20, 11
	v_sub_u32_e32 v14, 0x3f1, v11
	v_cndmask_b32_e64 v9, 0, 1, vcc
	v_and_or_b32 v5, v7, s10, v5
	v_sub_u32_e32 v15, 0x3f1, v13
	v_med3_i32 v7, v14, 0, 13
	v_and_or_b32 v9, v12, s10, v9
	v_or_b32_e32 v14, 0x1000, v5
	v_add_u32_e32 v11, 0xfffffc10, v11
	v_med3_i32 v12, v15, 0, 13
	v_cmp_ne_u32_e32 vcc, 0, v5
	v_or_b32_e32 v16, 0x1000, v9
	v_lshrrev_b32_e32 v18, v7, v14
	v_add_u32_e32 v13, 0xfffffc10, v13
	v_lshl_or_b32 v15, v11, 12, v5
	v_cndmask_b32_e64 v5, 0, 1, vcc
	v_cmp_ne_u32_e32 vcc, 0, v9
	v_lshrrev_b32_e32 v19, v12, v16
	v_lshlrev_b32_e32 v7, v7, v18
	v_lshl_or_b32 v17, v13, 12, v9
	v_cndmask_b32_e64 v9, 0, 1, vcc
	v_lshlrev_b32_e32 v12, v12, v19
	v_cmp_ne_u32_e32 vcc, v7, v14
	v_cndmask_b32_e64 v7, 0, 1, vcc
	v_cmp_ne_u32_e32 vcc, v12, v16
	v_cndmask_b32_e64 v12, 0, 1, vcc
	v_or_b32_e32 v7, v18, v7
	v_cmp_gt_i32_e32 vcc, 1, v11
	v_cndmask_b32_e32 v7, v15, v7, vcc
	v_or_b32_e32 v12, v19, v12
	v_cmp_gt_i32_e32 vcc, 1, v13
	v_and_b32_e32 v14, 7, v7
	v_cndmask_b32_e32 v12, v17, v12, vcc
	v_cmp_lt_i32_e32 vcc, 5, v14
	v_cmp_eq_u32_e64 s[0:1], 3, v14
	v_lshrrev_b32_e32 v7, 2, v7
	v_and_b32_e32 v15, 7, v12
	s_or_b64 vcc, s[0:1], vcc
	v_cmp_lt_i32_e64 s[2:3], 5, v15
	v_cmp_eq_u32_e64 s[4:5], 3, v15
	v_addc_co_u32_e32 v7, vcc, 0, v7, vcc
	v_lshrrev_b32_e32 v12, 2, v12
	s_or_b64 vcc, s[4:5], s[2:3]
	v_addc_co_u32_e32 v12, vcc, 0, v12, vcc
	v_cmp_gt_i32_e32 vcc, 31, v11
	v_cndmask_b32_e32 v7, v2, v7, vcc
	v_cmp_gt_i32_e32 vcc, 31, v13
	v_lshl_or_b32 v5, v5, 9, v2
	v_cndmask_b32_e32 v12, v2, v12, vcc
	v_cmp_eq_u32_e32 vcc, s18, v11
	v_lshrrev_b32_e32 v8, 16, v8
	v_lshl_or_b32 v9, v9, 9, v2
	v_cndmask_b32_e32 v5, v7, v5, vcc
	v_cmp_eq_u32_e32 vcc, s18, v13
	v_lshrrev_b32_e32 v10, 16, v10
	v_cndmask_b32_e32 v7, v12, v9, vcc
	v_and_or_b32 v5, v8, s17, v5
	v_and_or_b32 v7, v10, s17, v7
	v_and_b32_e32 v5, 0xffff, v5
	v_lshl_or_b32 v5, v7, 16, v5
	global_store_dword v[3:4], v5, off
	global_load_dword v0, v[0:1], off offset:3392
	v_lshrrev_b32_e32 v1, 16, v6
	v_mov_b32_e32 v7, s9
	s_waitcnt vmcnt(0)
	v_mul_f16_sdwa v5, v1, v0 dst_sel:DWORD dst_unused:UNUSED_PAD src0_sel:DWORD src1_sel:WORD_1
	v_fma_f16 v5, v6, v0, v5
	v_mul_f16_sdwa v6, v6, v0 dst_sel:DWORD dst_unused:UNUSED_PAD src0_sel:DWORD src1_sel:WORD_1
	v_cvt_f32_f16_e32 v5, v5
	v_fma_f16 v0, v0, v1, -v6
	v_cvt_f32_f16_e32 v6, v0
	v_cvt_f64_f32_e32 v[0:1], v5
	v_cvt_f64_f32_e32 v[5:6], v6
	v_mul_f64 v[0:1], v[0:1], s[14:15]
	v_mul_f64 v[5:6], v[5:6], s[14:15]
	v_and_or_b32 v0, v1, s16, v0
	v_cmp_ne_u32_e32 vcc, 0, v0
	v_and_or_b32 v5, v6, s16, v5
	v_lshrrev_b32_e32 v8, 8, v1
	v_bfe_u32 v9, v1, 20, 11
	v_cndmask_b32_e64 v0, 0, 1, vcc
	v_cmp_ne_u32_e32 vcc, 0, v5
	v_lshrrev_b32_e32 v10, 8, v6
	v_bfe_u32 v11, v6, 20, 11
	v_sub_u32_e32 v12, 0x3f1, v9
	v_cndmask_b32_e64 v5, 0, 1, vcc
	v_and_or_b32 v0, v8, s10, v0
	v_sub_u32_e32 v13, 0x3f1, v11
	v_med3_i32 v8, v12, 0, 13
	v_and_or_b32 v5, v10, s10, v5
	v_or_b32_e32 v12, 0x1000, v0
	v_add_u32_e32 v9, 0xfffffc10, v9
	v_med3_i32 v10, v13, 0, 13
	v_cmp_ne_u32_e32 vcc, 0, v0
	v_or_b32_e32 v14, 0x1000, v5
	v_lshrrev_b32_e32 v16, v8, v12
	v_add_u32_e32 v11, 0xfffffc10, v11
	v_lshl_or_b32 v13, v9, 12, v0
	v_cndmask_b32_e64 v0, 0, 1, vcc
	v_cmp_ne_u32_e32 vcc, 0, v5
	v_lshrrev_b32_e32 v17, v10, v14
	v_lshlrev_b32_e32 v8, v8, v16
	v_lshl_or_b32 v15, v11, 12, v5
	v_cndmask_b32_e64 v5, 0, 1, vcc
	v_lshlrev_b32_e32 v10, v10, v17
	v_cmp_ne_u32_e32 vcc, v8, v12
	v_cndmask_b32_e64 v8, 0, 1, vcc
	v_cmp_ne_u32_e32 vcc, v10, v14
	v_cndmask_b32_e64 v10, 0, 1, vcc
	v_or_b32_e32 v8, v16, v8
	v_cmp_gt_i32_e32 vcc, 1, v9
	v_cndmask_b32_e32 v8, v13, v8, vcc
	v_or_b32_e32 v10, v17, v10
	v_cmp_gt_i32_e32 vcc, 1, v11
	v_and_b32_e32 v12, 7, v8
	v_cndmask_b32_e32 v10, v15, v10, vcc
	v_cmp_lt_i32_e32 vcc, 5, v12
	v_cmp_eq_u32_e64 s[0:1], 3, v12
	v_lshrrev_b32_e32 v8, 2, v8
	v_and_b32_e32 v13, 7, v10
	s_or_b64 vcc, s[0:1], vcc
	v_cmp_lt_i32_e64 s[2:3], 5, v13
	v_cmp_eq_u32_e64 s[4:5], 3, v13
	v_addc_co_u32_e32 v8, vcc, 0, v8, vcc
	v_lshrrev_b32_e32 v10, 2, v10
	s_or_b64 vcc, s[4:5], s[2:3]
	v_addc_co_u32_e32 v10, vcc, 0, v10, vcc
	v_cmp_gt_i32_e32 vcc, 31, v9
	v_cndmask_b32_e32 v8, v2, v8, vcc
	v_cmp_gt_i32_e32 vcc, 31, v11
	v_lshl_or_b32 v0, v0, 9, v2
	v_lshl_or_b32 v5, v5, 9, v2
	v_cndmask_b32_e32 v2, v2, v10, vcc
	v_cmp_eq_u32_e32 vcc, s18, v9
	v_lshrrev_b32_e32 v1, 16, v1
	v_cndmask_b32_e32 v0, v8, v0, vcc
	v_cmp_eq_u32_e32 vcc, s18, v11
	v_lshrrev_b32_e32 v6, 16, v6
	v_cndmask_b32_e32 v2, v2, v5, vcc
	v_and_or_b32 v0, v1, s17, v0
	v_and_or_b32 v1, v6, s17, v2
	v_and_b32_e32 v0, 0xffff, v0
	v_lshl_or_b32 v2, v1, 16, v0
	v_add_co_u32_e32 v0, vcc, s8, v3
	v_addc_co_u32_e32 v1, vcc, v4, v7, vcc
	global_store_dword v[0:1], v2, off
.LBB0_23:
	s_endpgm
	.section	.rodata,"a",@progbits
	.p2align	6, 0x0
	.amdhsa_kernel bluestein_single_fwd_len1989_dim1_half_op_CI_CI
		.amdhsa_group_segment_fixed_size 7956
		.amdhsa_private_segment_fixed_size 96
		.amdhsa_kernarg_size 104
		.amdhsa_user_sgpr_count 6
		.amdhsa_user_sgpr_private_segment_buffer 1
		.amdhsa_user_sgpr_dispatch_ptr 0
		.amdhsa_user_sgpr_queue_ptr 0
		.amdhsa_user_sgpr_kernarg_segment_ptr 1
		.amdhsa_user_sgpr_dispatch_id 0
		.amdhsa_user_sgpr_flat_scratch_init 0
		.amdhsa_user_sgpr_private_segment_size 0
		.amdhsa_uses_dynamic_stack 0
		.amdhsa_system_sgpr_private_segment_wavefront_offset 1
		.amdhsa_system_sgpr_workgroup_id_x 1
		.amdhsa_system_sgpr_workgroup_id_y 0
		.amdhsa_system_sgpr_workgroup_id_z 0
		.amdhsa_system_sgpr_workgroup_info 0
		.amdhsa_system_vgpr_workitem_id 0
		.amdhsa_next_free_vgpr 256
		.amdhsa_next_free_sgpr 52
		.amdhsa_reserve_vcc 1
		.amdhsa_reserve_flat_scratch 0
		.amdhsa_float_round_mode_32 0
		.amdhsa_float_round_mode_16_64 0
		.amdhsa_float_denorm_mode_32 3
		.amdhsa_float_denorm_mode_16_64 3
		.amdhsa_dx10_clamp 1
		.amdhsa_ieee_mode 1
		.amdhsa_fp16_overflow 0
		.amdhsa_exception_fp_ieee_invalid_op 0
		.amdhsa_exception_fp_denorm_src 0
		.amdhsa_exception_fp_ieee_div_zero 0
		.amdhsa_exception_fp_ieee_overflow 0
		.amdhsa_exception_fp_ieee_underflow 0
		.amdhsa_exception_fp_ieee_inexact 0
		.amdhsa_exception_int_div_zero 0
	.end_amdhsa_kernel
	.text
.Lfunc_end0:
	.size	bluestein_single_fwd_len1989_dim1_half_op_CI_CI, .Lfunc_end0-bluestein_single_fwd_len1989_dim1_half_op_CI_CI
                                        ; -- End function
	.section	.AMDGPU.csdata,"",@progbits
; Kernel info:
; codeLenInByte = 34204
; NumSgprs: 56
; NumVgprs: 256
; ScratchSize: 96
; MemoryBound: 0
; FloatMode: 240
; IeeeMode: 1
; LDSByteSize: 7956 bytes/workgroup (compile time only)
; SGPRBlocks: 6
; VGPRBlocks: 63
; NumSGPRsForWavesPerEU: 56
; NumVGPRsForWavesPerEU: 256
; Occupancy: 1
; WaveLimiterHint : 1
; COMPUTE_PGM_RSRC2:SCRATCH_EN: 1
; COMPUTE_PGM_RSRC2:USER_SGPR: 6
; COMPUTE_PGM_RSRC2:TRAP_HANDLER: 0
; COMPUTE_PGM_RSRC2:TGID_X_EN: 1
; COMPUTE_PGM_RSRC2:TGID_Y_EN: 0
; COMPUTE_PGM_RSRC2:TGID_Z_EN: 0
; COMPUTE_PGM_RSRC2:TIDIG_COMP_CNT: 0
	.type	__hip_cuid_9c7e42ff9b65045e,@object ; @__hip_cuid_9c7e42ff9b65045e
	.section	.bss,"aw",@nobits
	.globl	__hip_cuid_9c7e42ff9b65045e
__hip_cuid_9c7e42ff9b65045e:
	.byte	0                               ; 0x0
	.size	__hip_cuid_9c7e42ff9b65045e, 1

	.ident	"AMD clang version 19.0.0git (https://github.com/RadeonOpenCompute/llvm-project roc-6.4.0 25133 c7fe45cf4b819c5991fe208aaa96edf142730f1d)"
	.section	".note.GNU-stack","",@progbits
	.addrsig
	.addrsig_sym __hip_cuid_9c7e42ff9b65045e
	.amdgpu_metadata
---
amdhsa.kernels:
  - .args:
      - .actual_access:  read_only
        .address_space:  global
        .offset:         0
        .size:           8
        .value_kind:     global_buffer
      - .actual_access:  read_only
        .address_space:  global
        .offset:         8
        .size:           8
        .value_kind:     global_buffer
      - .actual_access:  read_only
        .address_space:  global
        .offset:         16
        .size:           8
        .value_kind:     global_buffer
      - .actual_access:  read_only
        .address_space:  global
        .offset:         24
        .size:           8
        .value_kind:     global_buffer
      - .actual_access:  read_only
        .address_space:  global
        .offset:         32
        .size:           8
        .value_kind:     global_buffer
      - .offset:         40
        .size:           8
        .value_kind:     by_value
      - .address_space:  global
        .offset:         48
        .size:           8
        .value_kind:     global_buffer
      - .address_space:  global
        .offset:         56
        .size:           8
        .value_kind:     global_buffer
      - .address_space:  global
        .offset:         64
        .size:           8
        .value_kind:     global_buffer
      - .address_space:  global
        .offset:         72
        .size:           8
        .value_kind:     global_buffer
      - .offset:         80
        .size:           4
        .value_kind:     by_value
      - .address_space:  global
        .offset:         88
        .size:           8
        .value_kind:     global_buffer
      - .address_space:  global
        .offset:         96
        .size:           8
        .value_kind:     global_buffer
    .group_segment_fixed_size: 7956
    .kernarg_segment_align: 8
    .kernarg_segment_size: 104
    .language:       OpenCL C
    .language_version:
      - 2
      - 0
    .max_flat_workgroup_size: 153
    .name:           bluestein_single_fwd_len1989_dim1_half_op_CI_CI
    .private_segment_fixed_size: 96
    .sgpr_count:     56
    .sgpr_spill_count: 0
    .symbol:         bluestein_single_fwd_len1989_dim1_half_op_CI_CI.kd
    .uniform_work_group_size: 1
    .uses_dynamic_stack: false
    .vgpr_count:     256
    .vgpr_spill_count: 23
    .wavefront_size: 64
amdhsa.target:   amdgcn-amd-amdhsa--gfx906
amdhsa.version:
  - 1
  - 2
...

	.end_amdgpu_metadata
